;; amdgpu-corpus repo=ROCm/rocFFT kind=compiled arch=gfx1030 opt=O3
	.text
	.amdgcn_target "amdgcn-amd-amdhsa--gfx1030"
	.amdhsa_code_object_version 6
	.protected	bluestein_single_fwd_len1890_dim1_sp_op_CI_CI ; -- Begin function bluestein_single_fwd_len1890_dim1_sp_op_CI_CI
	.globl	bluestein_single_fwd_len1890_dim1_sp_op_CI_CI
	.p2align	8
	.type	bluestein_single_fwd_len1890_dim1_sp_op_CI_CI,@function
bluestein_single_fwd_len1890_dim1_sp_op_CI_CI: ; @bluestein_single_fwd_len1890_dim1_sp_op_CI_CI
; %bb.0:
	s_load_dwordx4 s[8:11], s[4:5], 0x28
	v_mul_u32_u24_e32 v1, 0x209, v0
	v_mov_b32_e32 v141, 0
	s_mov_b32 s0, exec_lo
	v_lshrrev_b32_e32 v1, 16, v1
	v_add_nc_u32_e32 v140, s6, v1
	s_waitcnt lgkmcnt(0)
	v_cmpx_gt_u64_e64 s[8:9], v[140:141]
	s_cbranch_execz .LBB0_23
; %bb.1:
	s_clause 0x1
	s_load_dwordx4 s[0:3], s[4:5], 0x18
	s_load_dwordx2 s[6:7], s[4:5], 0x0
	v_mul_lo_u16 v1, 0x7e, v1
	v_sub_nc_u16 v38, v0, v1
	v_and_b32_e32 v180, 0xffff, v38
	v_lshlrev_b32_e32 v179, 3, v180
	s_waitcnt lgkmcnt(0)
	s_load_dwordx4 s[12:15], s[0:1], 0x0
	s_clause 0x2
	global_load_dwordx2 v[155:156], v179, s[6:7]
	global_load_dwordx2 v[149:150], v179, s[6:7] offset:1008
	global_load_dwordx2 v[147:148], v179, s[6:7] offset:2016
	v_add_co_u32 v122, s0, s6, v179
	v_add_co_ci_u32_e64 v123, null, s7, 0, s0
	v_add_co_u32 v132, vcc_lo, 0x1800, v122
	v_add_co_ci_u32_e32 v133, vcc_lo, 0, v123, vcc_lo
	v_add_co_u32 v0, vcc_lo, 0x2000, v122
	v_add_co_ci_u32_e32 v1, vcc_lo, 0, v123, vcc_lo
	;; [unrolled: 2-line block ×3, first 2 shown]
	s_waitcnt lgkmcnt(0)
	v_mad_u64_u32 v[8:9], null, s14, v140, 0
	v_mad_u64_u32 v[10:11], null, s12, v180, 0
	s_clause 0x4
	global_load_dwordx2 v[161:162], v[132:133], off offset:1416
	global_load_dwordx2 v[159:160], v[0:1], off offset:376
	global_load_dwordx2 v[157:158], v[0:1], off offset:1384
	global_load_dwordx2 v[151:152], v[2:3], off offset:976
	global_load_dwordx2 v[141:142], v[2:3], off offset:1984
	v_add_co_u32 v4, vcc_lo, 0x2800, v122
	v_mov_b32_e32 v0, v9
	v_add_co_ci_u32_e32 v5, vcc_lo, 0, v123, vcc_lo
	v_mov_b32_e32 v1, v11
	v_add_co_u32 v6, vcc_lo, 0x1000, v122
	v_add_co_ci_u32_e32 v7, vcc_lo, 0, v123, vcc_lo
	v_mad_u64_u32 v[2:3], null, s15, v140, v[0:1]
	v_add_co_u32 v12, vcc_lo, 0x3000, v122
	v_add_co_ci_u32_e32 v13, vcc_lo, 0, v123, vcc_lo
	s_mul_i32 s1, s13, 0x3b1
	s_mul_hi_u32 s7, s12, 0x3b1
	v_mad_u64_u32 v[0:1], null, s13, v180, v[1:2]
	v_mov_b32_e32 v9, v2
	s_mul_i32 s0, s12, 0x3b1
	s_mul_hi_u32 s9, s12, 0xfffffccd
	s_add_i32 s1, s7, s1
	s_mul_i32 s8, s13, 0xfffffccd
	s_mul_i32 s6, s12, 0xfffffccd
	v_mov_b32_e32 v11, v0
	v_lshlrev_b64 v[0:1], 3, v[8:9]
	s_sub_i32 s7, s9, s12
	s_lshl_b64 s[12:13], s[0:1], 3
	s_add_i32 s7, s7, s8
	v_lshlrev_b64 v[2:3], 3, v[10:11]
	s_lshl_b64 s[0:1], s[6:7], 3
	v_add_co_u32 v0, vcc_lo, s10, v0
	v_add_co_ci_u32_e32 v1, vcc_lo, s11, v1, vcc_lo
	s_clause 0x1
	global_load_dwordx2 v[153:154], v[4:5], off offset:344
	global_load_dwordx2 v[136:137], v[4:5], off offset:1352
	v_add_co_u32 v0, vcc_lo, v0, v2
	v_add_co_ci_u32_e32 v1, vcc_lo, v1, v3, vcc_lo
	s_clause 0x1
	global_load_dwordx2 v[138:139], v[6:7], off offset:944
	global_load_dwordx2 v[134:135], v[12:13], off offset:312
	v_add_co_u32 v2, vcc_lo, v0, s12
	v_add_co_ci_u32_e32 v3, vcc_lo, s13, v1, vcc_lo
	global_load_dwordx2 v[8:9], v[0:1], off
	v_add_co_u32 v4, vcc_lo, v2, s0
	v_add_co_ci_u32_e32 v5, vcc_lo, s1, v3, vcc_lo
	v_add_co_u32 v0, vcc_lo, v4, s12
	v_add_co_ci_u32_e32 v1, vcc_lo, s13, v5, vcc_lo
	s_clause 0x2
	global_load_dwordx2 v[2:3], v[2:3], off
	global_load_dwordx2 v[14:15], v[4:5], off
	;; [unrolled: 1-line block ×3, first 2 shown]
	v_add_co_u32 v10, vcc_lo, v0, s0
	v_add_co_ci_u32_e32 v11, vcc_lo, s1, v1, vcc_lo
	v_add_co_u32 v0, vcc_lo, v10, s12
	v_add_co_ci_u32_e32 v1, vcc_lo, s13, v11, vcc_lo
	global_load_dwordx2 v[10:11], v[10:11], off
	v_add_co_u32 v4, vcc_lo, v0, s0
	v_add_co_ci_u32_e32 v5, vcc_lo, s1, v1, vcc_lo
	global_load_dwordx2 v[18:19], v[0:1], off
	;; [unrolled: 3-line block ×8, first 2 shown]
	v_add_co_u32 v0, vcc_lo, v4, s12
	v_add_co_ci_u32_e32 v1, vcc_lo, s13, v5, vcc_lo
	global_load_dwordx2 v[143:144], v[6:7], off offset:1952
	global_load_dwordx2 v[32:33], v[4:5], off
	global_load_dwordx2 v[145:146], v[12:13], off offset:1320
	global_load_dwordx2 v[12:13], v[0:1], off
	s_load_dwordx2 s[6:7], s[4:5], 0x38
	s_load_dwordx4 s[8:11], s[2:3], 0x0
	v_add_nc_u32_e32 v6, 0x2000, v179
	v_add_nc_u32_e32 v5, 0x400, v179
	;; [unrolled: 1-line block ×3, first 2 shown]
	v_cmp_gt_u16_e32 vcc_lo, 63, v38
	s_waitcnt vmcnt(15)
	v_mul_f32_e32 v34, v9, v156
	v_mul_f32_e32 v7, v8, v156
	v_fmac_f32_e32 v34, v8, v155
	v_fma_f32 v35, v9, v155, -v7
	v_add_nc_u32_e32 v7, 0xc00, v179
	s_waitcnt vmcnt(14)
	v_mul_f32_e32 v8, v3, v162
	v_mul_f32_e32 v37, v2, v162
	s_waitcnt vmcnt(13)
	v_mul_f32_e32 v36, v15, v150
	v_mul_f32_e32 v39, v14, v150
	v_fmac_f32_e32 v8, v2, v161
	v_fma_f32 v9, v3, v161, -v37
	v_fmac_f32_e32 v36, v14, v149
	v_fma_f32 v37, v15, v149, -v39
	s_waitcnt vmcnt(12)
	v_mul_f32_e32 v2, v17, v160
	v_mul_f32_e32 v3, v16, v160
	ds_write_b64 v179, v[8:9] offset:7560
	ds_write2_b64 v179, v[34:35], v[36:37] offset1:126
	s_waitcnt vmcnt(11)
	v_mul_f32_e32 v14, v11, v148
	v_fmac_f32_e32 v2, v16, v159
	v_fma_f32 v3, v17, v159, -v3
	v_mul_f32_e32 v15, v10, v148
	s_waitcnt vmcnt(10)
	v_mul_f32_e32 v8, v19, v158
	v_mul_f32_e32 v9, v18, v158
	v_fmac_f32_e32 v14, v10, v147
	v_fma_f32 v15, v11, v147, -v15
	v_fmac_f32_e32 v8, v18, v157
	v_fma_f32 v9, v19, v157, -v9
	s_waitcnt vmcnt(9)
	v_mul_f32_e32 v16, v21, v152
	v_mul_f32_e32 v17, v20, v152
	ds_write2_b64 v6, v[2:3], v[8:9] offset0:47 offset1:173
	v_fmac_f32_e32 v16, v20, v151
	v_fma_f32 v17, v21, v151, -v17
	s_waitcnt vmcnt(8)
	v_mul_f32_e32 v2, v23, v154
	s_waitcnt vmcnt(7)
	v_mul_f32_e32 v8, v24, v142
	v_mul_f32_e32 v3, v22, v154
	;; [unrolled: 1-line block ×3, first 2 shown]
	ds_write2_b64 v5, v[14:15], v[16:17] offset0:124 offset1:250
	v_fmac_f32_e32 v2, v22, v153
	v_fma_f32 v10, v25, v141, -v8
	s_waitcnt vmcnt(6)
	v_mul_f32_e32 v8, v26, v137
	v_mul_f32_e32 v14, v27, v137
	v_fma_f32 v3, v23, v153, -v3
	v_fmac_f32_e32 v9, v24, v141
	s_waitcnt vmcnt(5)
	v_mul_f32_e32 v11, v28, v139
	v_fma_f32 v15, v27, v136, -v8
	v_mul_f32_e32 v16, v29, v139
	v_fmac_f32_e32 v14, v26, v136
	s_waitcnt vmcnt(4)
	v_mul_f32_e32 v8, v30, v135
	v_mul_f32_e32 v18, v31, v135
	v_fma_f32 v17, v29, v138, -v11
	s_waitcnt vmcnt(2)
	v_mul_f32_e32 v20, v33, v144
	v_mul_f32_e32 v21, v32, v144
	s_waitcnt vmcnt(0)
	v_mul_f32_e32 v11, v13, v146
	v_mul_f32_e32 v22, v12, v146
	v_fma_f32 v19, v31, v134, -v8
	v_add_nc_u32_e32 v8, 0x3000, v179
	v_fmac_f32_e32 v16, v28, v138
	v_fmac_f32_e32 v20, v32, v143
	v_fma_f32 v21, v33, v143, -v21
	v_fmac_f32_e32 v18, v30, v134
	v_fmac_f32_e32 v11, v12, v145
	v_fma_f32 v12, v13, v145, -v22
	ds_write2_b64 v4, v[2:3], v[14:15] offset0:43 offset1:169
	ds_write2_b64 v7, v[9:10], v[16:17] offset0:120 offset1:246
	ds_write_b64 v179, v[20:21] offset:6048
	ds_write2_b64 v8, v[18:19], v[11:12] offset0:39 offset1:165
	s_and_saveexec_b32 s2, vcc_lo
	s_cbranch_execz .LBB0_3
; %bb.2:
	v_add_co_u32 v0, s0, v0, s0
	v_add_co_ci_u32_e64 v1, s0, s1, v1, s0
	v_add_co_u32 v2, s0, 0x3800, v122
	v_add_co_ci_u32_e64 v3, s0, 0, v123, s0
	;; [unrolled: 2-line block ×3, first 2 shown]
	global_load_dwordx2 v[0:1], v[0:1], off
	s_clause 0x1
	global_load_dwordx2 v[11:12], v[132:133], off offset:912
	global_load_dwordx2 v[2:3], v[2:3], off offset:280
	global_load_dwordx2 v[9:10], v[9:10], off
	s_waitcnt vmcnt(2)
	v_mul_f32_e32 v13, v1, v12
	v_mul_f32_e32 v12, v0, v12
	s_waitcnt vmcnt(0)
	v_mul_f32_e32 v15, v10, v3
	v_mul_f32_e32 v3, v9, v3
	v_fmac_f32_e32 v13, v0, v11
	v_fma_f32 v14, v1, v11, -v12
	v_fmac_f32_e32 v15, v9, v2
	v_fma_f32 v16, v10, v2, -v3
	ds_write_b64 v179, v[13:14] offset:7056
	ds_write_b64 v179, v[15:16] offset:14616
.LBB0_3:
	s_or_b32 exec_lo, exec_lo, s2
	v_add_nc_u32_e32 v0, 0x1600, v179
	s_waitcnt lgkmcnt(0)
	s_barrier
	buffer_gl0_inv
	ds_read2_b64 v[20:23], v179 offset1:126
	ds_read2_b64 v[0:3], v0 offset0:52 offset1:241
	ds_read2_b64 v[24:27], v6 offset0:47 offset1:173
	;; [unrolled: 1-line block ×6, first 2 shown]
	s_load_dwordx2 s[2:3], s[4:5], 0x8
                                        ; implicit-def: $vgpr30
                                        ; implicit-def: $vgpr28
	s_and_saveexec_b32 s0, vcc_lo
	s_cbranch_execz .LBB0_5
; %bb.4:
	ds_read_b64 v[28:29], v179 offset:7056
	ds_read_b64 v[30:31], v179 offset:14616
.LBB0_5:
	s_or_b32 exec_lo, exec_lo, s0
	v_add_co_u32 v125, s0, 0x7e, v180
	v_add_co_ci_u32_e64 v32, null, 0, 0, s0
	v_add_co_u32 v36, s0, 0x17a, v180
	s_waitcnt lgkmcnt(0)
	v_sub_f32_e32 v34, v20, v2
	v_add_co_ci_u32_e64 v32, null, 0, 0, s0
	v_add_co_u32 v37, s0, 0x1f8, v180
	v_add_co_ci_u32_e64 v32, null, 0, 0, s0
	v_fma_f32 v32, v20, 2.0, -v34
	v_sub_f32_e32 v40, v12, v26
	v_sub_f32_e32 v20, v4, v18
	;; [unrolled: 1-line block ×3, first 2 shown]
	v_add_co_u32 v124, null, 0xfc, v180
	v_sub_f32_e32 v24, v22, v24
	v_add_co_u32 v42, null, 0x372, v180
	v_sub_f32_e32 v25, v23, v25
	v_sub_f32_e32 v16, v14, v16
	;; [unrolled: 1-line block ×3, first 2 shown]
	v_fma_f32 v38, v12, 2.0, -v40
	v_fma_f32 v18, v4, 2.0, -v20
	v_lshlrev_b16 v4, 1, v180
	v_mov_b32_e32 v12, 3
	v_fma_f32 v33, v21, 2.0, -v35
	v_sub_f32_e32 v41, v13, v27
	v_sub_f32_e32 v21, v5, v19
	;; [unrolled: 1-line block ×6, first 2 shown]
	v_lshlrev_b32_e32 v187, 4, v180
	v_fma_f32 v22, v22, 2.0, -v24
	v_fma_f32 v23, v23, 2.0, -v25
	v_fma_f32 v14, v14, 2.0, -v16
	v_fma_f32 v15, v15, 2.0, -v17
	v_sub_f32_e32 v80, v28, v30
	v_sub_f32_e32 v81, v29, v31
	v_lshlrev_b32_sdwa v181, v12, v4 dst_sel:DWORD dst_unused:UNUSED_PAD src0_sel:DWORD src1_sel:WORD_0
	v_lshlrev_b32_e32 v183, 4, v125
	v_lshlrev_b32_e32 v184, 4, v124
	;; [unrolled: 1-line block ×5, first 2 shown]
	v_fma_f32 v39, v13, 2.0, -v41
	v_fma_f32 v19, v5, 2.0, -v21
	;; [unrolled: 1-line block ×6, first 2 shown]
	s_barrier
	buffer_gl0_inv
	ds_write_b128 v181, v[32:35]
	ds_write_b128 v183, v[22:25]
	;; [unrolled: 1-line block ×5, first 2 shown]
	ds_write_b128 v187, v[6:9] offset:10080
	ds_write_b128 v187, v[0:3] offset:12096
	s_and_saveexec_b32 s0, vcc_lo
	s_cbranch_execz .LBB0_7
; %bb.6:
	v_fma_f32 v79, v29, 2.0, -v81
	v_fma_f32 v78, v28, 2.0, -v80
	ds_write_b128 v182, v[78:81]
.LBB0_7:
	s_or_b32 exec_lo, exec_lo, s0
	v_and_b32_e32 v35, 1, v180
	s_waitcnt lgkmcnt(0)
	s_barrier
	buffer_gl0_inv
	v_lshrrev_b32_e32 v46, 1, v180
	v_lshlrev_b32_e32 v0, 4, v35
	v_lshrrev_b32_e32 v47, 1, v125
	v_lshrrev_b32_e32 v48, 1, v124
	;; [unrolled: 1-line block ×4, first 2 shown]
	global_load_dwordx4 v[0:3], v0, s[2:3]
	v_and_b32_e32 v20, 0xff, v180
	v_and_b32_e32 v13, 0xff, v125
	v_mov_b32_e32 v51, 0xaaab
	v_mul_u32_u24_e32 v46, 6, v46
	v_mul_u32_u24_e32 v47, 6, v47
	;; [unrolled: 1-line block ×5, first 2 shown]
	v_mul_lo_u16 v52, 0xab, v20
	v_mul_lo_u16 v53, 0xab, v13
	v_mul_u32_u24_sdwa v54, v124, v51 dst_sel:DWORD dst_unused:UNUSED_PAD src0_sel:WORD_0 src1_sel:DWORD
	v_add_nc_u32_e32 v19, 0xc00, v179
	v_add_nc_u32_e32 v18, 0x2400, v179
	v_or_b32_e32 v46, v46, v35
	v_or_b32_e32 v47, v47, v35
	v_or_b32_e32 v48, v48, v35
	v_or_b32_e32 v49, v49, v35
	v_or_b32_e32 v35, v50, v35
	v_lshrrev_b16 v50, 10, v52
	v_lshrrev_b16 v52, 10, v53
	v_lshrrev_b32_e32 v53, 18, v54
	v_add_nc_u32_e32 v17, 0x1400, v179
	v_add_nc_u32_e32 v14, 0x400, v179
	;; [unrolled: 1-line block ×3, first 2 shown]
	ds_read2_b64 v[4:7], v179 offset1:126
	v_add_nc_u32_e32 v15, 0x1c00, v179
	ds_read_b64 v[33:34], v179 offset:14112
	ds_read2_b64 v[8:11], v19 offset0:120 offset1:246
	ds_read2_b64 v[21:24], v18 offset0:108 offset1:234
	;; [unrolled: 1-line block ×6, first 2 shown]
	v_lshlrev_b32_e32 v192, 3, v47
	v_lshlrev_b32_e32 v189, 3, v35
	v_mul_lo_u16 v35, v50, 6
	v_mul_lo_u16 v47, v53, 6
	v_mul_u32_u24_sdwa v55, v36, v51 dst_sel:DWORD dst_unused:UNUSED_PAD src0_sel:WORD_0 src1_sel:DWORD
	v_mul_u32_u24_sdwa v51, v37, v51 dst_sel:DWORD dst_unused:UNUSED_PAD src0_sel:WORD_0 src1_sel:DWORD
	v_lshlrev_b32_e32 v191, 3, v48
	v_sub_nc_u16 v35, v180, v35
	v_sub_nc_u16 v47, v124, v47
	v_lshrrev_b32_e32 v54, 18, v55
	v_lshrrev_b32_e32 v51, 18, v51
	v_lshlrev_b32_e32 v190, 3, v49
	v_and_b32_e32 v55, 0xff, v35
	v_lshlrev_b16 v35, 4, v47
	v_mul_lo_u16 v48, v54, 6
	v_mul_lo_u16 v49, v51, 6
	v_lshlrev_b32_e32 v193, 3, v46
	v_mul_lo_u16 v46, v52, 6
	v_and_b32_e32 v60, 0xffff, v35
	v_sub_nc_u16 v48, v36, v48
	v_sub_nc_u16 v49, v37, v49
	s_waitcnt vmcnt(0) lgkmcnt(0)
	v_sub_nc_u16 v46, v125, v46
	s_barrier
	v_lshlrev_b16 v56, 4, v48
	v_lshlrev_b16 v57, 4, v49
	buffer_gl0_inv
	v_and_b32_e32 v46, 0xff, v46
	v_lshlrev_b32_e32 v58, 4, v55
	v_and_b32_e32 v56, 0xffff, v56
	v_and_b32_e32 v57, 0xffff, v57
	v_mad_u16 v48, v54, 18, v48
	v_lshlrev_b32_e32 v59, 4, v46
	v_mad_u16 v49, v51, 18, v49
                                        ; implicit-def: $vgpr112
                                        ; implicit-def: $vgpr114
                                        ; implicit-def: $vgpr120
                                        ; implicit-def: $vgpr118
                                        ; implicit-def: $vgpr116
	v_lshlrev_b32_sdwa v195, v12, v48 dst_sel:DWORD dst_unused:UNUSED_PAD src0_sel:DWORD src1_sel:WORD_0
	v_lshlrev_b32_sdwa v194, v12, v49 dst_sel:DWORD dst_unused:UNUSED_PAD src0_sel:DWORD src1_sel:WORD_0
	v_mul_f32_e32 v35, v11, v1
	v_mul_f32_e32 v61, v10, v1
	;; [unrolled: 1-line block ×20, first 2 shown]
	v_fma_f32 v10, v10, v0, -v35
	v_fmac_f32_e32 v61, v11, v0
	v_fma_f32 v11, v21, v2, -v62
	v_fmac_f32_e32 v63, v22, v2
	;; [unrolled: 2-line block ×10, first 2 shown]
	v_add_f32_e32 v34, v10, v11
	v_add_f32_e32 v39, v61, v63
	;; [unrolled: 1-line block ×7, first 2 shown]
	v_sub_f32_e32 v35, v61, v63
	v_add_f32_e32 v38, v5, v61
	v_sub_f32_e32 v40, v10, v11
	v_add_f32_e32 v72, v25, v27
	;; [unrolled: 2-line block ×3, first 2 shown]
	v_add_f32_e32 v73, v73, v75
	v_add_f32_e32 v82, v8, v26
	;; [unrolled: 1-line block ×3, first 2 shown]
	v_sub_f32_e32 v84, v77, v79
	v_add_f32_e32 v85, v9, v77
	v_add_f32_e32 v77, v77, v79
	v_fma_f32 v4, -0.5, v34, v4
	v_fma_f32 v5, -0.5, v39, v5
	v_add_f32_e32 v41, v6, v21
	v_sub_f32_e32 v43, v65, v67
	v_add_f32_e32 v44, v7, v65
	v_sub_f32_e32 v61, v21, v22
	v_fma_f32 v6, -0.5, v42, v6
	v_fmac_f32_e32 v7, -0.5, v45
	v_add_f32_e32 v62, v29, v23
	v_sub_f32_e32 v65, v69, v71
	v_add_f32_e32 v66, v30, v69
	v_sub_f32_e32 v69, v23, v24
	;; [unrolled: 2-line block ×3, first 2 shown]
	v_sub_f32_e32 v86, v26, v33
	v_fma_f32 v25, -0.5, v64, v29
	v_fma_f32 v26, -0.5, v68, v30
	v_add_f32_e32 v10, v28, v11
	v_add_f32_e32 v11, v38, v63
	v_fma_f32 v31, -0.5, v72, v31
	v_fmac_f32_e32 v32, -0.5, v73
	v_add_f32_e32 v29, v82, v33
	v_fma_f32 v8, -0.5, v83, v8
	v_fmac_f32_e32 v9, -0.5, v77
	v_fmamk_f32 v33, v35, 0x3f5db3d7, v4
	v_fmamk_f32 v34, v40, 0xbf5db3d7, v5
	v_fmac_f32_e32 v4, 0xbf5db3d7, v35
	v_fmac_f32_e32 v5, 0x3f5db3d7, v40
	v_add_f32_e32 v21, v41, v22
	v_add_f32_e32 v22, v44, v67
	v_fmamk_f32 v38, v43, 0x3f5db3d7, v6
	v_fmamk_f32 v39, v61, 0xbf5db3d7, v7
	v_fmac_f32_e32 v6, 0xbf5db3d7, v43
	v_fmac_f32_e32 v7, 0x3f5db3d7, v61
	v_add_f32_e32 v23, v62, v24
	v_add_f32_e32 v24, v66, v71
	v_fmamk_f32 v40, v65, 0x3f5db3d7, v25
	v_fmamk_f32 v41, v69, 0xbf5db3d7, v26
	v_add_f32_e32 v27, v70, v27
	v_add_f32_e32 v28, v76, v75
	;; [unrolled: 1-line block ×3, first 2 shown]
	v_fmac_f32_e32 v25, 0xbf5db3d7, v65
	v_fmac_f32_e32 v26, 0x3f5db3d7, v69
	v_fmamk_f32 v42, v74, 0x3f5db3d7, v31
	v_fmac_f32_e32 v31, 0xbf5db3d7, v74
	v_fmamk_f32 v43, v78, 0xbf5db3d7, v32
	;; [unrolled: 2-line block ×4, first 2 shown]
	v_fmac_f32_e32 v9, 0x3f5db3d7, v86
	ds_write2_b64 v193, v[10:11], v[33:34] offset1:2
	ds_write_b64 v193, v[4:5] offset:32
	ds_write2_b64 v192, v[21:22], v[38:39] offset1:2
	ds_write_b64 v192, v[6:7] offset:32
	;; [unrolled: 2-line block ×5, first 2 shown]
	v_add_co_u32 v4, s0, s2, v60
	v_add_co_ci_u32_e64 v5, null, s3, 0, s0
	v_add_co_u32 v6, s0, s2, v56
	s_waitcnt lgkmcnt(0)
	s_barrier
	buffer_gl0_inv
	v_add_co_ci_u32_e64 v7, null, s3, 0, s0
	global_load_dwordx4 v[24:27], v[4:5], off offset:32
	v_add_co_u32 v4, s0, s2, v57
	s_clause 0x1
	global_load_dwordx4 v[32:35], v58, s[2:3] offset:32
	global_load_dwordx4 v[28:31], v59, s[2:3] offset:32
	v_add_co_ci_u32_e64 v5, null, s3, 0, s0
	s_clause 0x1
	global_load_dwordx4 v[8:11], v[6:7], off offset:32
	global_load_dwordx4 v[4:7], v[4:5], off offset:32
	v_mov_b32_e32 v21, 0xe38f
	v_mul_lo_u16 v23, v20, 57
	v_mul_lo_u16 v38, v13, 57
	v_mov_b32_e32 v22, 18
	v_mad_u16 v44, v53, 18, v47
	v_mul_u32_u24_sdwa v39, v124, v21 dst_sel:DWORD dst_unused:UNUSED_PAD src0_sel:WORD_0 src1_sel:DWORD
	v_mul_u32_u24_sdwa v40, v36, v21 dst_sel:DWORD dst_unused:UNUSED_PAD src0_sel:WORD_0 src1_sel:DWORD
	;; [unrolled: 1-line block ×3, first 2 shown]
	v_lshrrev_b16 v23, 10, v23
	v_lshrrev_b16 v64, 10, v38
	v_lshrrev_b32_e32 v65, 20, v39
	v_lshrrev_b32_e32 v66, 20, v40
	;; [unrolled: 1-line block ×3, first 2 shown]
	v_mul_lo_u16 v38, v23, 18
	v_mul_lo_u16 v39, v64, 18
	;; [unrolled: 1-line block ×5, first 2 shown]
	v_sub_nc_u16 v38, v180, v38
	v_sub_nc_u16 v39, v125, v39
	;; [unrolled: 1-line block ×5, first 2 shown]
	v_mul_u32_u24_sdwa v21, v50, v22 dst_sel:DWORD dst_unused:UNUSED_PAD src0_sel:WORD_0 src1_sel:DWORD
	v_mul_u32_u24_sdwa v22, v52, v22 dst_sel:DWORD dst_unused:UNUSED_PAD src0_sel:WORD_0 src1_sel:DWORD
	v_lshlrev_b16 v50, 4, v68
	v_and_b32_e32 v71, 0xff, v38
	v_and_b32_e32 v72, 0xff, v39
	v_lshlrev_b16 v52, 4, v69
	v_lshlrev_b16 v56, 4, v70
	ds_read2_b64 v[36:39], v19 offset0:120 offset1:246
	ds_read2_b64 v[40:43], v18 offset0:108 offset1:234
	v_add_lshl_u32 v197, v22, v46, 3
	v_lshlrev_b32_sdwa v196, v12, v44 dst_sel:DWORD dst_unused:UNUSED_PAD src0_sel:DWORD src1_sel:WORD_0
	ds_read2_b64 v[44:47], v17 offset0:116 offset1:242
	v_and_b32_e32 v75, 0xffff, v50
	ds_read2_b64 v[48:51], v16 offset0:104 offset1:230
	v_add_lshl_u32 v198, v21, v55, 3
	v_and_b32_e32 v76, 0xffff, v52
	ds_read2_b64 v[52:55], v15 offset0:112 offset1:238
	v_and_b32_e32 v77, 0xffff, v56
	ds_read2_b64 v[56:59], v179 offset1:126
	ds_read2_b64 v[60:63], v14 offset0:124 offset1:250
	ds_read_b64 v[21:22], v179 offset:14112
	s_waitcnt vmcnt(0) lgkmcnt(0)
	s_barrier
	buffer_gl0_inv
	v_lshlrev_b32_e32 v73, 4, v71
	v_lshlrev_b32_e32 v74, 4, v72
	v_mul_f32_e32 v88, v47, v25
	v_mul_f32_e32 v89, v46, v25
	;; [unrolled: 1-line block ×20, first 2 shown]
	v_fma_f32 v38, v38, v32, -v78
	v_fmac_f32_e32 v79, v39, v32
	v_fma_f32 v39, v40, v34, -v82
	v_fmac_f32_e32 v83, v41, v34
	;; [unrolled: 2-line block ×10, first 2 shown]
	v_add_f32_e32 v21, v56, v38
	v_add_f32_e32 v22, v38, v39
	;; [unrolled: 1-line block ×7, first 2 shown]
	v_sub_f32_e32 v51, v79, v83
	v_add_f32_e32 v47, v57, v79
	v_sub_f32_e32 v52, v38, v39
	v_add_f32_e32 v50, v58, v40
	v_add_f32_e32 v92, v44, v46
	v_sub_f32_e32 v94, v93, v95
	v_add_f32_e32 v96, v63, v93
	v_add_f32_e32 v93, v93, v95
	v_add_f32_e32 v101, v45, v48
	v_sub_f32_e32 v102, v97, v99
	v_add_f32_e32 v103, v37, v97
	v_add_f32_e32 v97, v97, v99
	;; [unrolled: 1-line block ×3, first 2 shown]
	v_fma_f32 v38, -0.5, v22, v56
	v_fma_f32 v39, -0.5, v49, v57
	v_sub_f32_e32 v54, v85, v87
	v_add_f32_e32 v55, v59, v85
	v_sub_f32_e32 v79, v40, v41
	v_fma_f32 v58, -0.5, v53, v58
	v_fmac_f32_e32 v59, -0.5, v78
	v_add_f32_e32 v82, v60, v42
	v_sub_f32_e32 v85, v89, v91
	v_add_f32_e32 v86, v61, v89
	v_sub_f32_e32 v89, v42, v43
	;; [unrolled: 2-line block ×4, first 2 shown]
	v_fma_f32 v44, -0.5, v84, v60
	v_fma_f32 v45, -0.5, v88, v61
	v_add_f32_e32 v22, v47, v83
	v_add_f32_e32 v40, v50, v41
	v_fma_f32 v62, -0.5, v92, v62
	v_fmac_f32_e32 v63, -0.5, v93
	v_fma_f32 v36, -0.5, v101, v36
	v_fmac_f32_e32 v37, -0.5, v97
	v_fmamk_f32 v50, v51, 0x3f5db3d7, v38
	v_fmac_f32_e32 v38, 0xbf5db3d7, v51
	v_fmamk_f32 v51, v52, 0xbf5db3d7, v39
	v_fmac_f32_e32 v39, 0x3f5db3d7, v52
	v_add_f32_e32 v41, v55, v87
	v_fmamk_f32 v52, v54, 0x3f5db3d7, v58
	v_fmamk_f32 v53, v79, 0xbf5db3d7, v59
	v_fmac_f32_e32 v58, 0xbf5db3d7, v54
	v_fmac_f32_e32 v59, 0x3f5db3d7, v79
	v_add_f32_e32 v42, v82, v43
	v_add_f32_e32 v43, v86, v91
	v_fmamk_f32 v54, v85, 0x3f5db3d7, v44
	v_fmamk_f32 v55, v89, 0xbf5db3d7, v45
	v_add_f32_e32 v46, v90, v46
	v_add_f32_e32 v47, v96, v95
	;; [unrolled: 1-line block ×4, first 2 shown]
	v_fmac_f32_e32 v44, 0xbf5db3d7, v85
	v_fmac_f32_e32 v45, 0x3f5db3d7, v89
	v_fmamk_f32 v56, v94, 0x3f5db3d7, v62
	v_fmac_f32_e32 v62, 0xbf5db3d7, v94
	v_fmamk_f32 v57, v98, 0xbf5db3d7, v63
	;; [unrolled: 2-line block ×4, first 2 shown]
	v_fmac_f32_e32 v37, 0x3f5db3d7, v104
	ds_write2_b64 v198, v[21:22], v[50:51] offset1:6
	ds_write_b64 v198, v[38:39] offset:96
	ds_write2_b64 v197, v[40:41], v[52:53] offset1:6
	ds_write_b64 v197, v[58:59] offset:96
	ds_write2_b64 v196, v[42:43], v[54:55] offset1:6
	ds_write_b64 v196, v[44:45] offset:96
	ds_write2_b64 v195, v[46:47], v[56:57] offset1:6
	ds_write_b64 v195, v[62:63] offset:96
	ds_write2_b64 v194, v[48:49], v[60:61] offset1:6
	ds_write_b64 v194, v[36:37] offset:96
	v_add_co_u32 v21, s0, s2, v75
	v_add_co_ci_u32_e64 v22, null, s3, 0, s0
	v_add_co_u32 v36, s0, s2, v76
	s_waitcnt lgkmcnt(0)
	s_barrier
	buffer_gl0_inv
	v_add_co_ci_u32_e64 v37, null, s3, 0, s0
	global_load_dwordx4 v[44:47], v[21:22], off offset:128
	v_add_co_u32 v21, s0, s2, v77
	s_clause 0x1
	global_load_dwordx4 v[52:55], v73, s[2:3] offset:128
	global_load_dwordx4 v[48:51], v74, s[2:3] offset:128
	v_add_co_ci_u32_e64 v22, null, s3, 0, s0
	s_clause 0x1
	global_load_dwordx4 v[40:43], v[36:37], off offset:128
	global_load_dwordx4 v[36:39], v[21:22], off offset:128
	v_mov_b32_e32 v21, 54
	ds_read2_b64 v[82:85], v19 offset0:120 offset1:246
	ds_read2_b64 v[56:59], v18 offset0:108 offset1:234
	v_mad_u16 v18, v65, 54, v68
	ds_read2_b64 v[60:63], v17 offset0:116 offset1:242
	v_mul_u32_u24_sdwa v19, v64, v21 dst_sel:DWORD dst_unused:UNUSED_PAD src0_sel:WORD_0 src1_sel:DWORD
	v_mul_u32_u24_sdwa v22, v23, v21 dst_sel:DWORD dst_unused:UNUSED_PAD src0_sel:WORD_0 src1_sel:DWORD
	v_mad_u16 v21, v66, 54, v69
	v_lshlrev_b32_sdwa v201, v12, v18 dst_sel:DWORD dst_unused:UNUSED_PAD src0_sel:DWORD src1_sel:WORD_0
	v_mad_u16 v23, v67, 54, v70
	v_add_lshl_u32 v202, v19, v72, 3
	ds_read2_b64 v[16:19], v16 offset0:104 offset1:230
	v_add_lshl_u32 v203, v22, v71, 3
	ds_read2_b64 v[64:67], v15 offset0:112 offset1:238
	ds_read2_b64 v[68:71], v179 offset1:126
	ds_read2_b64 v[72:75], v14 offset0:124 offset1:250
	ds_read_b64 v[14:15], v179 offset:14112
	v_lshlrev_b32_sdwa v200, v12, v21 dst_sel:DWORD dst_unused:UNUSED_PAD src0_sel:DWORD src1_sel:WORD_0
	v_lshlrev_b32_sdwa v199, v12, v23 dst_sel:DWORD dst_unused:UNUSED_PAD src0_sel:DWORD src1_sel:WORD_0
	v_add_nc_u32_e32 v76, 0x800, v179
	v_add_nc_u32_e32 v77, 0x1000, v179
	;; [unrolled: 1-line block ×6, first 2 shown]
	s_waitcnt vmcnt(0) lgkmcnt(0)
	s_barrier
	buffer_gl0_inv
	v_cmp_gt_u16_e64 s0, 18, v180
	v_mul_f32_e32 v92, v63, v45
	v_mul_f32_e32 v93, v62, v45
	;; [unrolled: 1-line block ×20, first 2 shown]
	v_fma_f32 v12, v84, v52, -v12
	v_fmac_f32_e32 v21, v85, v52
	v_fma_f32 v22, v56, v54, -v22
	v_fmac_f32_e32 v23, v57, v54
	;; [unrolled: 2-line block ×10, first 2 shown]
	v_add_f32_e32 v15, v12, v22
	v_add_f32_e32 v19, v21, v23
	;; [unrolled: 1-line block ×4, first 2 shown]
	v_sub_f32_e32 v63, v21, v23
	v_add_f32_e32 v18, v69, v21
	v_add_f32_e32 v21, v70, v56
	v_sub_f32_e32 v65, v87, v91
	v_add_f32_e32 v64, v71, v87
	v_sub_f32_e32 v67, v56, v57
	v_add_f32_e32 v56, v72, v58
	v_add_f32_e32 v84, v58, v59
	;; [unrolled: 1-line block ×4, first 2 shown]
	v_sub_f32_e32 v12, v12, v22
	v_sub_f32_e32 v85, v93, v95
	v_add_f32_e32 v86, v73, v93
	v_sub_f32_e32 v90, v58, v59
	v_add_f32_e32 v58, v74, v16
	v_add_f32_e32 v92, v16, v60
	v_sub_f32_e32 v93, v97, v99
	v_add_f32_e32 v94, v75, v97
	;; [unrolled: 3-line block ×4, first 2 shown]
	v_add_f32_e32 v101, v101, v103
	v_sub_f32_e32 v105, v17, v61
	v_fma_f32 v16, -0.5, v15, v68
	v_fma_f32 v17, -0.5, v19, v69
	;; [unrolled: 1-line block ×3, first 2 shown]
	v_fmac_f32_e32 v71, -0.5, v66
	v_add_f32_e32 v15, v18, v23
	v_add_f32_e32 v18, v21, v57
	;; [unrolled: 1-line block ×3, first 2 shown]
	v_fma_f32 v56, -0.5, v84, v72
	v_fma_f32 v57, -0.5, v87, v73
	v_add_f32_e32 v14, v14, v22
	v_fma_f32 v74, -0.5, v92, v74
	v_fmac_f32_e32 v75, -0.5, v96
	v_fma_f32 v82, -0.5, v100, v82
	v_fmac_f32_e32 v83, -0.5, v101
	v_fmamk_f32 v62, v63, 0x3f5db3d7, v16
	v_fmac_f32_e32 v16, 0xbf5db3d7, v63
	v_fmamk_f32 v63, v12, 0xbf5db3d7, v17
	v_fmac_f32_e32 v17, 0x3f5db3d7, v12
	v_add_f32_e32 v19, v64, v91
	v_fmamk_f32 v64, v65, 0x3f5db3d7, v70
	v_fmac_f32_e32 v70, 0xbf5db3d7, v65
	v_fmamk_f32 v65, v67, 0xbf5db3d7, v71
	v_fmac_f32_e32 v71, 0x3f5db3d7, v67
	v_add_f32_e32 v22, v86, v95
	v_fmamk_f32 v66, v85, 0x3f5db3d7, v56
	v_fmamk_f32 v67, v90, 0xbf5db3d7, v57
	v_add_f32_e32 v58, v58, v60
	v_add_f32_e32 v59, v94, v99
	;; [unrolled: 1-line block ×4, first 2 shown]
	v_fmac_f32_e32 v56, 0xbf5db3d7, v85
	v_fmac_f32_e32 v57, 0x3f5db3d7, v90
	v_fmamk_f32 v68, v93, 0x3f5db3d7, v74
	v_fmac_f32_e32 v74, 0xbf5db3d7, v93
	v_fmamk_f32 v69, v97, 0xbf5db3d7, v75
	;; [unrolled: 2-line block ×4, first 2 shown]
	v_fmac_f32_e32 v83, 0x3f5db3d7, v105
	ds_write2_b64 v203, v[14:15], v[62:63] offset1:18
	ds_write_b64 v203, v[16:17] offset:288
	ds_write2_b64 v202, v[18:19], v[64:65] offset1:18
	ds_write_b64 v202, v[70:71] offset:288
	;; [unrolled: 2-line block ×5, first 2 shown]
	s_waitcnt lgkmcnt(0)
	s_barrier
	buffer_gl0_inv
	ds_read2_b64 v[84:87], v179 offset1:126
	ds_read2_b64 v[108:111], v76 offset0:14 offset1:140
	ds_read2_b64 v[104:107], v77 offset0:28 offset1:154
	;; [unrolled: 1-line block ×6, first 2 shown]
	s_and_saveexec_b32 s1, s0
	s_cbranch_execz .LBB0_9
; %bb.8:
	ds_read_b64 v[82:83], v179 offset:2016
	ds_read_b64 v[80:81], v179 offset:4176
	;; [unrolled: 1-line block ×7, first 2 shown]
.LBB0_9:
	s_or_b32 exec_lo, exec_lo, s1
	v_mul_lo_u16 v12, v20, 19
	v_mul_lo_u16 v13, v13, 19
	v_lshrrev_b16 v16, 1, v124
	v_mov_b32_e32 v17, 0x97b5
	v_mov_b32_e32 v130, 0x17a
	v_lshrrev_b16 v126, 10, v12
	v_lshrrev_b16 v127, 10, v13
	v_mul_lo_u16 v12, v126, 54
	v_mul_lo_u16 v14, v127, 54
	v_mul_u32_u24_sdwa v126, v126, v130 dst_sel:DWORD dst_unused:UNUSED_PAD src0_sel:WORD_0 src1_sel:DWORD
	v_mul_u32_u24_sdwa v127, v127, v130 dst_sel:DWORD dst_unused:UNUSED_PAD src0_sel:WORD_0 src1_sel:DWORD
	v_sub_nc_u16 v12, v180, v12
	v_sub_nc_u16 v14, v125, v14
	v_and_b32_e32 v128, 0xff, v12
	v_and_b32_e32 v129, 0xff, v14
	v_mad_u64_u32 v[12:13], null, v128, 48, s[2:3]
	v_mad_u64_u32 v[14:15], null, v129, 48, s[2:3]
	v_add_lshl_u32 v205, v126, v128, 3
	v_add_lshl_u32 v204, v127, v129, 3
	s_clause 0x3
	global_load_dwordx4 v[68:71], v[12:13], off offset:416
	global_load_dwordx4 v[76:79], v[12:13], off offset:432
	;; [unrolled: 1-line block ×4, first 2 shown]
	v_mul_u32_u24_sdwa v12, v16, v17 dst_sel:DWORD dst_unused:UNUSED_PAD src0_sel:WORD_0 src1_sel:DWORD
	s_clause 0x1
	global_load_dwordx4 v[60:63], v[14:15], off offset:432
	global_load_dwordx4 v[56:59], v[14:15], off offset:448
	v_add_nc_u32_e32 v126, 0x400, v205
	v_add_nc_u32_e32 v127, 0x400, v204
	v_lshrrev_b32_e32 v12, 20, v12
	v_mul_lo_u16 v12, v12, 54
	v_sub_nc_u16 v188, v124, v12
	v_mul_lo_u16 v12, v188, 48
	v_and_b32_e32 v12, 0xffff, v12
	v_add_co_u32 v20, s1, s2, v12
	v_add_co_ci_u32_e64 v21, null, s3, 0, s1
	s_clause 0x2
	global_load_dwordx4 v[16:19], v[20:21], off offset:416
	global_load_dwordx4 v[12:15], v[20:21], off offset:432
	;; [unrolled: 1-line block ×3, first 2 shown]
	s_waitcnt vmcnt(0) lgkmcnt(0)
	s_barrier
	buffer_gl0_inv
	v_mul_f32_e32 v128, v109, v69
	v_mul_f32_e32 v129, v108, v69
	;; [unrolled: 1-line block ×24, first 2 shown]
	v_fma_f32 v108, v108, v68, -v128
	v_fmac_f32_e32 v129, v109, v68
	v_fma_f32 v104, v104, v70, -v130
	v_fmac_f32_e32 v131, v105, v70
	;; [unrolled: 2-line block ×12, first 2 shown]
	v_mul_f32_e32 v91, v81, v17
	v_mul_f32_e32 v95, v80, v17
	;; [unrolled: 1-line block ×12, first 2 shown]
	v_add_f32_e32 v128, v108, v88
	v_add_f32_e32 v130, v129, v170
	v_sub_f32_e32 v88, v108, v88
	v_sub_f32_e32 v108, v129, v170
	v_add_f32_e32 v129, v104, v92
	v_add_f32_e32 v163, v131, v168
	v_sub_f32_e32 v92, v104, v92
	v_sub_f32_e32 v104, v131, v168
	;; [unrolled: 4-line block ×3, first 2 shown]
	v_add_f32_e32 v164, v89, v90
	v_add_f32_e32 v166, v172, v209
	;; [unrolled: 1-line block ×4, first 2 shown]
	v_sub_f32_e32 v93, v93, v94
	v_sub_f32_e32 v94, v174, v207
	v_add_f32_e32 v169, v97, v98
	v_add_f32_e32 v170, v176, v178
	v_sub_f32_e32 v97, v98, v97
	v_sub_f32_e32 v98, v178, v176
	v_fma_f32 v80, v80, v16, -v91
	v_fmac_f32_e32 v95, v81, v16
	v_fma_f32 v81, v116, v18, -v99
	v_fmac_f32_e32 v101, v117, v18
	v_fma_f32 v91, v112, v12, -v102
	v_fma_f32 v99, v118, v14, -v105
	;; [unrolled: 1-line block ×3, first 2 shown]
	v_fmac_f32_e32 v109, v115, v20
	v_fma_f32 v105, v120, v22, -v110
	v_fmac_f32_e32 v111, v121, v22
	v_sub_f32_e32 v89, v89, v90
	v_sub_f32_e32 v90, v172, v209
	v_fmac_f32_e32 v103, v113, v12
	v_fmac_f32_e32 v106, v119, v14
	v_add_f32_e32 v107, v129, v128
	v_add_f32_e32 v110, v163, v130
	v_sub_f32_e32 v112, v129, v128
	v_sub_f32_e32 v113, v163, v130
	;; [unrolled: 1-line block ×6, first 2 shown]
	v_add_f32_e32 v118, v96, v92
	v_add_f32_e32 v119, v100, v104
	v_sub_f32_e32 v120, v96, v92
	v_sub_f32_e32 v121, v100, v104
	;; [unrolled: 1-line block ×4, first 2 shown]
	v_add_f32_e32 v128, v167, v164
	v_add_f32_e32 v129, v168, v166
	v_sub_f32_e32 v130, v167, v164
	v_sub_f32_e32 v163, v168, v166
	;; [unrolled: 1-line block ×8, first 2 shown]
	v_add_f32_e32 v175, v80, v105
	v_add_f32_e32 v176, v95, v111
	v_sub_f32_e32 v80, v80, v105
	v_sub_f32_e32 v95, v95, v111
	v_add_f32_e32 v105, v81, v102
	v_add_f32_e32 v111, v101, v109
	v_sub_f32_e32 v96, v88, v96
	v_sub_f32_e32 v100, v108, v100
	;; [unrolled: 4-line block ×3, first 2 shown]
	v_sub_f32_e32 v81, v81, v102
	v_sub_f32_e32 v101, v101, v109
	v_add_f32_e32 v102, v91, v99
	v_add_f32_e32 v109, v103, v106
	v_sub_f32_e32 v91, v99, v91
	v_sub_f32_e32 v99, v106, v103
	v_add_f32_e32 v103, v131, v107
	v_add_f32_e32 v106, v165, v110
	;; [unrolled: 1-line block ×4, first 2 shown]
	v_mul_f32_e32 v108, 0x3f4a47b2, v114
	v_mul_f32_e32 v110, 0x3f4a47b2, v115
	;; [unrolled: 1-line block ×8, first 2 shown]
	v_add_f32_e32 v128, v169, v128
	v_add_f32_e32 v129, v170, v129
	v_mul_f32_e32 v131, 0x3f4a47b2, v164
	v_mul_f32_e32 v164, 0x3f4a47b2, v166
	;; [unrolled: 1-line block ×6, first 2 shown]
	v_add_f32_e32 v173, v105, v175
	v_add_f32_e32 v174, v111, v176
	v_sub_f32_e32 v97, v89, v97
	v_sub_f32_e32 v98, v90, v98
	v_add_f32_e32 v89, v171, v89
	v_add_f32_e32 v90, v172, v90
	v_mul_f32_e32 v171, 0x3f5ff5aa, v93
	v_mul_f32_e32 v172, 0x3f5ff5aa, v94
	v_sub_f32_e32 v177, v105, v175
	v_sub_f32_e32 v178, v111, v176
	;; [unrolled: 1-line block ×6, first 2 shown]
	v_add_f32_e32 v206, v91, v81
	v_add_f32_e32 v207, v99, v101
	v_sub_f32_e32 v208, v91, v81
	v_sub_f32_e32 v209, v99, v101
	;; [unrolled: 1-line block ×4, first 2 shown]
	v_add_f32_e32 v84, v84, v103
	v_add_f32_e32 v85, v85, v106
	v_fmamk_f32 v116, v116, 0x3d64c772, v108
	v_fmamk_f32 v117, v117, 0x3d64c772, v110
	v_fma_f32 v114, 0x3f3bfb3b, v112, -v114
	v_fma_f32 v115, 0x3f3bfb3b, v113, -v115
	;; [unrolled: 1-line block ×4, first 2 shown]
	v_fmamk_f32 v112, v96, 0x3eae86e6, v118
	v_fmamk_f32 v113, v100, 0x3eae86e6, v119
	v_fma_f32 v118, 0x3f5ff5aa, v92, -v118
	v_fma_f32 v92, 0x3f5ff5aa, v104, -v119
	;; [unrolled: 1-line block ×4, first 2 shown]
	v_add_f32_e32 v86, v86, v128
	v_add_f32_e32 v87, v87, v129
	v_fma_f32 v120, 0x3f3bfb3b, v130, -v165
	v_fma_f32 v121, 0x3f3bfb3b, v163, -v166
	;; [unrolled: 1-line block ×4, first 2 shown]
	v_add_f32_e32 v93, v102, v173
	v_add_f32_e32 v94, v109, v174
	v_sub_f32_e32 v91, v80, v91
	v_sub_f32_e32 v99, v95, v99
	v_fmamk_f32 v104, v167, 0x3d64c772, v131
	v_fmamk_f32 v119, v168, 0x3d64c772, v164
	v_fma_f32 v130, 0xbf3bfb3b, v130, -v131
	v_fma_f32 v131, 0xbf3bfb3b, v163, -v164
	v_fmamk_f32 v163, v97, 0x3eae86e6, v169
	v_fmamk_f32 v164, v98, 0x3eae86e6, v170
	v_fma_f32 v167, 0xbeae86e6, v97, -v171
	v_fma_f32 v168, 0xbeae86e6, v98, -v172
	v_add_f32_e32 v97, v206, v80
	v_mul_f32_e32 v98, 0x3f4a47b2, v175
	v_mul_f32_e32 v102, 0x3f4a47b2, v176
	;; [unrolled: 1-line block ×8, first 2 shown]
	v_fmamk_f32 v103, v103, 0xbf955555, v84
	v_fmamk_f32 v106, v106, 0xbf955555, v85
	v_fmac_f32_e32 v112, 0x3ee1c552, v88
	v_fmac_f32_e32 v113, 0x3ee1c552, v107
	;; [unrolled: 1-line block ×6, first 2 shown]
	v_fmamk_f32 v88, v128, 0xbf955555, v86
	v_fmamk_f32 v107, v129, 0xbf955555, v87
	v_add_f32_e32 v80, v82, v93
	v_add_f32_e32 v81, v83, v94
	;; [unrolled: 1-line block ×3, first 2 shown]
	v_fmac_f32_e32 v165, 0x3ee1c552, v89
	v_fmac_f32_e32 v168, 0x3ee1c552, v90
	v_fmamk_f32 v128, v105, 0x3d64c772, v98
	v_fmamk_f32 v111, v111, 0x3d64c772, v102
	v_fma_f32 v129, 0x3f3bfb3b, v177, -v109
	v_fma_f32 v169, 0x3f3bfb3b, v178, -v169
	;; [unrolled: 1-line block ×4, first 2 shown]
	v_fmamk_f32 v177, v91, 0x3eae86e6, v170
	v_fmamk_f32 v178, v99, 0x3eae86e6, v171
	v_fma_f32 v170, 0x3f5ff5aa, v210, -v170
	v_fma_f32 v171, 0x3f5ff5aa, v101, -v171
	;; [unrolled: 1-line block ×4, first 2 shown]
	v_add_f32_e32 v98, v116, v103
	v_add_f32_e32 v99, v117, v106
	;; [unrolled: 1-line block ×8, first 2 shown]
	v_fmamk_f32 v114, v93, 0xbf955555, v80
	v_fmamk_f32 v115, v94, 0xbf955555, v81
	v_fmac_f32_e32 v163, 0x3ee1c552, v89
	v_fmac_f32_e32 v166, 0x3ee1c552, v90
	;; [unrolled: 1-line block ×3, first 2 shown]
	v_add_f32_e32 v108, v104, v88
	v_add_f32_e32 v109, v119, v107
	v_add_f32_e32 v104, v120, v88
	v_add_f32_e32 v107, v131, v107
	v_fmac_f32_e32 v177, 0x3ee1c552, v97
	v_fmac_f32_e32 v178, 0x3ee1c552, v95
	v_fmac_f32_e32 v170, 0x3ee1c552, v97
	v_fmac_f32_e32 v171, 0x3ee1c552, v95
	v_fmac_f32_e32 v172, 0x3ee1c552, v97
	v_fmac_f32_e32 v173, 0x3ee1c552, v95
	v_add_f32_e32 v82, v113, v98
	v_sub_f32_e32 v83, v99, v112
	v_add_f32_e32 v88, v100, v103
	v_sub_f32_e32 v89, v105, v96
	v_sub_f32_e32 v94, v103, v100
	v_add_f32_e32 v95, v96, v105
	v_sub_f32_e32 v96, v98, v113
	v_add_f32_e32 v97, v112, v99
	v_add_f32_e32 v100, v168, v110
	v_add_f32_e32 v103, v165, v106
	v_sub_f32_e32 v105, v106, v165
	v_sub_f32_e32 v106, v110, v168
	v_add_f32_e32 v110, v128, v114
	v_add_f32_e32 v111, v111, v115
	;; [unrolled: 1-line block ×6, first 2 shown]
	v_fmac_f32_e32 v164, 0x3ee1c552, v90
	v_sub_f32_e32 v90, v101, v92
	v_add_f32_e32 v91, v118, v102
	v_add_f32_e32 v92, v92, v101
	v_sub_f32_e32 v93, v102, v118
	v_sub_f32_e32 v101, v107, v167
	v_sub_f32_e32 v102, v104, v166
	v_add_f32_e32 v104, v166, v104
	v_add_f32_e32 v107, v167, v107
	;; [unrolled: 1-line block ×3, first 2 shown]
	v_sub_f32_e32 v176, v111, v177
	v_add_f32_e32 v165, v173, v114
	v_sub_f32_e32 v166, v115, v172
	v_sub_f32_e32 v167, v112, v171
	v_add_f32_e32 v168, v170, v113
	v_add_f32_e32 v169, v171, v112
	v_sub_f32_e32 v170, v113, v170
	v_sub_f32_e32 v171, v114, v173
	v_add_f32_e32 v172, v172, v115
	v_sub_f32_e32 v173, v110, v178
	v_add_f32_e32 v174, v177, v111
	v_add_f32_e32 v98, v164, v108
	v_sub_f32_e32 v99, v109, v163
	v_sub_f32_e32 v108, v108, v164
	v_add_f32_e32 v109, v163, v109
	ds_write2_b64 v205, v[84:85], v[82:83] offset1:54
	ds_write2_b64 v205, v[88:89], v[90:91] offset0:108 offset1:162
	ds_write2_b64 v126, v[92:93], v[94:95] offset0:88 offset1:142
	ds_write_b64 v205, v[96:97] offset:2592
	ds_write2_b64 v204, v[86:87], v[98:99] offset1:54
	ds_write2_b64 v204, v[100:101], v[102:103] offset0:108 offset1:162
	ds_write2_b64 v127, v[104:105], v[106:107] offset0:88 offset1:142
	ds_write_b64 v204, v[108:109] offset:2592
	s_and_saveexec_b32 s1, s0
	s_cbranch_execz .LBB0_11
; %bb.10:
	v_mov_b32_e32 v82, 3
	v_lshlrev_b32_sdwa v82, v82, v188 dst_sel:DWORD dst_unused:UNUSED_PAD src0_sel:DWORD src1_sel:WORD_0
	v_add_nc_u32_e32 v83, 0x2c00, v82
	v_add_nc_u32_e32 v84, 0x3000, v82
	ds_write2_b64 v83, v[80:81], v[175:176] offset0:104 offset1:158
	ds_write2_b64 v84, v[165:166], v[167:168] offset0:84 offset1:138
	;; [unrolled: 1-line block ×3, first 2 shown]
	ds_write_b64 v82, v[173:174] offset:14688
.LBB0_11:
	s_or_b32 exec_lo, exec_lo, s1
	v_lshlrev_b32_e32 v80, 5, v180
	v_lshlrev_b32_e32 v84, 5, v125
	;; [unrolled: 1-line block ×3, first 2 shown]
	s_waitcnt lgkmcnt(0)
	s_barrier
	v_add_co_u32 v82, s1, s2, v80
	v_add_co_ci_u32_e64 v83, null, s3, 0, s1
	buffer_gl0_inv
	v_add_co_u32 v80, s1, 0xbc0, v82
	v_add_co_ci_u32_e64 v81, s1, 0, v83, s1
	v_add_co_u32 v90, s1, s2, v84
	v_add_co_ci_u32_e64 v91, null, s3, 0, s1
	v_add_co_u32 v82, s1, 0x800, v82
	v_add_co_ci_u32_e64 v83, s1, 0, v83, s1
	v_add_co_u32 v88, s1, 0x800, v90
	v_add_co_ci_u32_e64 v89, s1, 0, v91, s1
	s_clause 0x1
	global_load_dwordx4 v[84:87], v[82:83], off offset:960
	global_load_dwordx4 v[80:83], v[80:81], off offset:16
	v_add_nc_u32_e32 v104, 0x1400, v179
	v_add_nc_u32_e32 v125, 0x1c00, v179
	global_load_dwordx4 v[92:95], v[88:89], off offset:960
	v_add_co_u32 v88, s1, 0xbc0, v90
	v_add_co_ci_u32_e64 v89, s1, 0, v91, s1
	v_add_co_u32 v100, s1, s2, v96
	v_add_co_ci_u32_e64 v101, null, s3, 0, s1
	global_load_dwordx4 v[88:91], v[88:89], off offset:16
	v_add_co_u32 v96, s1, 0x800, v100
	v_add_co_ci_u32_e64 v97, s1, 0, v101, s1
	v_add_co_u32 v100, s1, 0xbc0, v100
	v_add_co_ci_u32_e64 v101, s1, 0, v101, s1
	global_load_dwordx4 v[96:99], v[96:97], off offset:960
	v_add_nc_u32_e32 v124, 0x2c00, v179
	v_add_nc_u32_e32 v206, 0xc00, v179
	global_load_dwordx4 v[100:103], v[100:101], off offset:16
	ds_read2_b64 v[104:107], v104 offset0:116 offset1:242
	ds_read2_b64 v[108:111], v125 offset0:112 offset1:238
	;; [unrolled: 1-line block ×3, first 2 shown]
	v_add_nc_u32_e32 v126, 0x2400, v179
	v_add_nc_u32_e32 v207, 0x400, v179
	ds_read2_b64 v[116:119], v206 offset0:120 offset1:246
	ds_read2_b64 v[127:130], v126 offset0:108 offset1:234
	s_waitcnt vmcnt(5) lgkmcnt(4)
	v_mul_f32_e32 v121, v104, v87
	v_mul_f32_e32 v120, v105, v87
	s_waitcnt vmcnt(4) lgkmcnt(3)
	v_mul_f32_e32 v131, v111, v81
	s_waitcnt lgkmcnt(2)
	v_mul_f32_e32 v164, v113, v83
	s_waitcnt vmcnt(3)
	v_mul_f32_e32 v177, v107, v95
	v_fmac_f32_e32 v121, v105, v86
	v_fma_f32 v120, v104, v86, -v120
	s_waitcnt lgkmcnt(1)
	v_mul_f32_e32 v104, v117, v93
	v_mul_f32_e32 v210, v116, v93
	;; [unrolled: 1-line block ×3, first 2 shown]
	v_fma_f32 v177, v106, v94, -v177
	v_fma_f32 v164, v112, v82, -v164
	;; [unrolled: 1-line block ×3, first 2 shown]
	s_waitcnt vmcnt(2)
	v_mul_f32_e32 v105, v115, v91
	v_fmac_f32_e32 v210, v117, v92
	s_waitcnt lgkmcnt(0)
	v_mul_f32_e32 v104, v128, v89
	v_fmac_f32_e32 v178, v107, v94
	v_mul_f32_e32 v209, v114, v91
	v_fma_f32 v211, v114, v90, -v105
	v_fma_f32 v114, v110, v80, -v131
	v_mul_f32_e32 v163, v110, v81
	v_mul_f32_e32 v208, v112, v83
	s_waitcnt vmcnt(1)
	v_mul_f32_e32 v105, v119, v97
	v_mul_f32_e32 v212, v118, v97
	;; [unrolled: 1-line block ×4, first 2 shown]
	v_fmac_f32_e32 v209, v115, v90
	v_fma_f32 v117, v118, v96, -v105
	v_mul_f32_e32 v118, v127, v89
	s_waitcnt vmcnt(0)
	v_mul_f32_e32 v105, v130, v101
	v_fma_f32 v131, v108, v98, -v106
	v_fma_f32 v127, v127, v88, -v104
	v_fmac_f32_e32 v213, v109, v98
	v_fmac_f32_e32 v118, v128, v88
	v_fma_f32 v128, v129, v100, -v105
	ds_read2_b64 v[104:107], v207 offset0:124 offset1:250
	v_sub_f32_e32 v109, v164, v114
	v_fmac_f32_e32 v212, v119, v96
	v_mul_f32_e32 v119, v129, v101
	v_fmac_f32_e32 v163, v111, v80
	v_fmac_f32_e32 v208, v113, v82
	v_add_f32_e32 v112, v120, v114
	v_sub_f32_e32 v218, v120, v114
	v_fmac_f32_e32 v119, v130, v100
	v_add_f32_e32 v113, v121, v163
	v_sub_f32_e32 v217, v121, v163
	s_waitcnt lgkmcnt(0)
	v_mul_f32_e32 v108, v107, v85
	v_mul_f32_e32 v130, v106, v85
	v_fma_f32 v115, v106, v84, -v108
	v_fmac_f32_e32 v130, v107, v84
	v_sub_f32_e32 v107, v208, v163
	v_sub_f32_e32 v108, v115, v120
	;; [unrolled: 1-line block ×5, first 2 shown]
	v_add_f32_e32 v129, v108, v109
	ds_read2_b64 v[108:111], v179 offset1:126
	v_add_f32_e32 v214, v106, v107
	s_waitcnt lgkmcnt(0)
	v_fma_f32 v112, -0.5, v112, v108
	v_fma_f32 v113, -0.5, v113, v109
	v_fmamk_f32 v106, v215, 0x3f737871, v112
	v_fmamk_f32 v107, v216, 0xbf737871, v113
	v_fmac_f32_e32 v112, 0xbf737871, v215
	v_fmac_f32_e32 v113, 0x3f737871, v216
	v_fmac_f32_e32 v106, 0x3f167918, v217
	v_fmac_f32_e32 v107, 0xbf167918, v218
	v_fmac_f32_e32 v112, 0xbf167918, v217
	v_fmac_f32_e32 v113, 0x3f167918, v218
	v_fmac_f32_e32 v106, 0x3e9e377a, v129
	v_fmac_f32_e32 v107, 0x3e9e377a, v214
	v_fmac_f32_e32 v112, 0x3e9e377a, v129
	v_fmac_f32_e32 v113, 0x3e9e377a, v214
	v_sub_f32_e32 v129, v178, v210
	ds_write_b64 v179, v[106:107] offset:3024
	v_add_f32_e32 v106, v108, v115
	v_add_f32_e32 v107, v109, v130
	ds_write_b64 v179, v[112:113] offset:12096
	ds_read_b64 v[112:113], v179 offset:14112
	v_add_f32_e32 v106, v106, v120
	v_add_f32_e32 v107, v107, v121
	v_sub_f32_e32 v120, v120, v115
	v_add_f32_e32 v115, v115, v164
	v_sub_f32_e32 v121, v121, v130
	v_add_f32_e32 v130, v130, v208
	v_add_f32_e32 v106, v106, v114
	v_sub_f32_e32 v114, v114, v164
	v_fma_f32 v108, -0.5, v115, v108
	v_add_f32_e32 v107, v107, v163
	v_fma_f32 v109, -0.5, v130, v109
	v_sub_f32_e32 v163, v163, v208
	v_add_f32_e32 v120, v120, v114
	v_fmamk_f32 v114, v217, 0xbf737871, v108
	v_fmac_f32_e32 v108, 0x3f737871, v217
	v_fmamk_f32 v115, v218, 0x3f737871, v109
	v_fmac_f32_e32 v109, 0xbf737871, v218
	v_add_f32_e32 v121, v121, v163
	v_fmac_f32_e32 v114, 0x3f167918, v215
	v_fmac_f32_e32 v108, 0xbf167918, v215
	v_fmac_f32_e32 v115, 0xbf167918, v216
	v_fmac_f32_e32 v109, 0x3f167918, v216
	v_add_f32_e32 v106, v106, v164
	v_add_f32_e32 v107, v107, v208
	v_fmac_f32_e32 v108, 0x3e9e377a, v120
	v_fmac_f32_e32 v114, 0x3e9e377a, v120
	;; [unrolled: 1-line block ×4, first 2 shown]
	v_sub_f32_e32 v120, v177, v127
	v_sub_f32_e32 v121, v211, v127
	;; [unrolled: 1-line block ×3, first 2 shown]
	ds_write_b64 v179, v[108:109] offset:9072
	v_add_f32_e32 v108, v110, v116
	v_add_f32_e32 v109, v111, v210
	ds_write_b64 v179, v[114:115] offset:6048
	v_sub_f32_e32 v115, v127, v211
	v_sub_f32_e32 v163, v210, v178
	v_add_f32_e32 v108, v108, v177
	v_add_f32_e32 v109, v109, v178
	;; [unrolled: 1-line block ×4, first 2 shown]
	v_sub_f32_e32 v208, v210, v209
	v_add_f32_e32 v108, v108, v127
	v_add_f32_e32 v109, v109, v118
	v_sub_f32_e32 v210, v117, v131
	v_sub_f32_e32 v217, v212, v213
	v_add_f32_e32 v108, v108, v211
	v_add_f32_e32 v109, v109, v209
	ds_write2_b64 v179, v[106:107], v[108:109] offset1:126
	v_add_f32_e32 v109, v177, v127
	v_add_f32_e32 v127, v178, v118
	;; [unrolled: 1-line block ×4, first 2 shown]
	s_waitcnt lgkmcnt(3)
	v_mul_f32_e32 v106, v113, v103
	v_mul_f32_e32 v108, v112, v103
	v_add_f32_e32 v107, v107, v131
	v_add_f32_e32 v178, v178, v213
	v_fma_f32 v106, v112, v102, -v106
	v_fmac_f32_e32 v108, v113, v102
	v_sub_f32_e32 v112, v177, v116
	v_add_f32_e32 v107, v107, v128
	v_add_f32_e32 v178, v178, v119
	v_sub_f32_e32 v113, v116, v177
	v_sub_f32_e32 v116, v116, v211
	;; [unrolled: 1-line block ×4, first 2 shown]
	v_add_f32_e32 v209, v131, v128
	v_sub_f32_e32 v211, v131, v117
	v_sub_f32_e32 v131, v131, v128
	;; [unrolled: 1-line block ×4, first 2 shown]
	v_add_f32_e32 v215, v117, v106
	v_sub_f32_e32 v216, v117, v106
	v_add_f32_e32 v106, v107, v106
	v_add_f32_e32 v107, v178, v108
	v_sub_f32_e32 v117, v213, v119
	v_add_f32_e32 v178, v213, v119
	v_sub_f32_e32 v213, v213, v212
	v_sub_f32_e32 v218, v212, v108
	v_add_f32_e32 v212, v212, v108
	v_sub_f32_e32 v219, v108, v119
	v_sub_f32_e32 v119, v119, v108
	v_fma_f32 v108, -0.5, v109, v110
	v_fma_f32 v109, -0.5, v127, v111
	v_fmac_f32_e32 v111, -0.5, v164
	v_add_f32_e32 v220, v112, v115
	v_add_f32_e32 v129, v129, v177
	v_fma_f32 v177, -0.5, v209, v104
	v_fma_f32 v110, -0.5, v114, v110
	v_fmamk_f32 v115, v120, 0x3f737871, v111
	v_fmac_f32_e32 v111, 0xbf737871, v120
	v_add_f32_e32 v121, v113, v121
	v_fmamk_f32 v113, v116, 0xbf737871, v109
	v_fmac_f32_e32 v109, 0x3f737871, v116
	v_fmac_f32_e32 v115, 0xbf167918, v116
	v_fmac_f32_e32 v111, 0x3f167918, v116
	v_fmamk_f32 v116, v218, 0x3f737871, v177
	v_fmac_f32_e32 v177, 0xbf737871, v218
	v_fma_f32 v104, -0.5, v215, v104
	v_fma_f32 v178, -0.5, v178, v105
	v_fmac_f32_e32 v105, -0.5, v212
	v_fmamk_f32 v114, v130, 0xbf737871, v110
	v_fmac_f32_e32 v110, 0x3f737871, v130
	v_add_f32_e32 v163, v163, v118
	v_fmamk_f32 v112, v208, 0x3f737871, v108
	v_fmac_f32_e32 v108, 0xbf737871, v208
	v_fmac_f32_e32 v113, 0xbf167918, v120
	;; [unrolled: 1-line block ×3, first 2 shown]
	v_add_f32_e32 v164, v210, v214
	v_fmac_f32_e32 v116, 0x3f167918, v117
	v_fmac_f32_e32 v177, 0xbf167918, v117
	v_fmamk_f32 v118, v117, 0xbf737871, v104
	v_fmac_f32_e32 v104, 0x3f737871, v117
	v_fmamk_f32 v117, v216, 0xbf737871, v178
	v_add_f32_e32 v127, v213, v119
	v_fmac_f32_e32 v110, 0xbf167918, v208
	v_fmac_f32_e32 v178, 0x3f737871, v216
	v_fmamk_f32 v119, v131, 0x3f737871, v105
	v_fmac_f32_e32 v105, 0xbf737871, v131
	v_fmac_f32_e32 v112, 0x3f167918, v130
	;; [unrolled: 1-line block ×6, first 2 shown]
	v_add_co_u32 v163, s1, 0x3800, v122
	v_fmac_f32_e32 v116, 0x3e9e377a, v164
	v_fmac_f32_e32 v177, 0x3e9e377a, v164
	v_add_co_ci_u32_e64 v164, s1, 0, v123, s1
	v_add_f32_e32 v209, v217, v219
	v_fmac_f32_e32 v117, 0xbf167918, v131
	v_add_co_u32 v120, s1, 0x3b10, v122
	v_add_f32_e32 v128, v211, v128
	v_fmac_f32_e32 v118, 0x3f167918, v218
	v_fmac_f32_e32 v104, 0xbf167918, v218
	;; [unrolled: 1-line block ×11, first 2 shown]
	v_add_co_ci_u32_e64 v121, s1, 0, v123, s1
	v_fmac_f32_e32 v117, 0x3e9e377a, v209
	v_fmac_f32_e32 v118, 0x3e9e377a, v128
	v_fmac_f32_e32 v104, 0x3e9e377a, v128
	v_fmac_f32_e32 v178, 0x3e9e377a, v209
	v_fmac_f32_e32 v119, 0x3e9e377a, v127
	v_fmac_f32_e32 v105, 0x3e9e377a, v127
	ds_write_b64 v179, v[110:111] offset:10080
	ds_write_b64 v179, v[114:115] offset:7056
	;; [unrolled: 1-line block ×4, first 2 shown]
	ds_write2_b64 v206, v[112:113], v[116:117] offset0:120 offset1:246
	ds_write_b64 v179, v[118:119] offset:8064
	ds_write_b64 v179, v[104:105] offset:11088
	;; [unrolled: 1-line block ×3, first 2 shown]
	s_waitcnt lgkmcnt(0)
	s_barrier
	buffer_gl0_inv
	s_clause 0x1
	global_load_dwordx2 v[108:109], v[163:164], off offset:784
	global_load_dwordx2 v[110:111], v[120:121], off offset:1008
	ds_read2_b64 v[104:107], v179 offset1:126
	v_add_co_u32 v112, s1, 0x5800, v122
	v_add_co_ci_u32_e64 v113, s1, 0, v123, s1
	v_add_co_u32 v114, s1, 0x7000, v122
	v_add_co_ci_u32_e64 v115, s1, 0, v123, s1
	s_clause 0x3
	global_load_dwordx2 v[116:117], v[112:113], off offset:1160
	global_load_dwordx2 v[114:115], v[114:115], off offset:56
	;; [unrolled: 1-line block ×4, first 2 shown]
	s_waitcnt vmcnt(5) lgkmcnt(0)
	v_mul_f32_e32 v127, v105, v109
	v_mul_f32_e32 v128, v104, v109
	s_waitcnt vmcnt(4)
	v_mul_f32_e32 v109, v107, v111
	v_mul_f32_e32 v209, v106, v111
	v_add_co_u32 v111, s1, 0x6000, v122
	v_add_co_ci_u32_e64 v112, s1, 0, v123, s1
	v_fma_f32 v208, v106, v110, -v109
	v_fmac_f32_e32 v209, v107, v110
	v_fma_f32 v127, v104, v108, -v127
	global_load_dwordx2 v[109:110], v[111:112], off offset:120
	v_fmac_f32_e32 v128, v105, v108
	v_add_nc_u32_e32 v108, 0x2000, v179
	ds_write_b64 v179, v[127:128]
	ds_read2_b64 v[104:107], v108 offset0:47 offset1:173
	s_waitcnt vmcnt(4) lgkmcnt(0)
	v_mul_f32_e32 v113, v105, v117
	v_mul_f32_e32 v128, v104, v117
	v_fma_f32 v127, v104, v116, -v113
	v_fmac_f32_e32 v128, v105, v116
	v_add_co_u32 v116, s1, 0x4800, v122
	v_add_co_ci_u32_e64 v117, s1, 0, v123, s1
	s_clause 0x1
	global_load_dwordx2 v[210:211], v[116:117], off offset:720
	global_load_dwordx2 v[111:112], v[111:112], off offset:1128
	s_waitcnt vmcnt(2)
	v_mul_f32_e32 v104, v107, v110
	v_mul_f32_e32 v213, v106, v110
	v_fma_f32 v212, v106, v109, -v104
	v_fmac_f32_e32 v213, v107, v109
	ds_read2_b64 v[104:107], v207 offset0:124 offset1:250
	s_waitcnt lgkmcnt(0)
	v_mul_f32_e32 v109, v105, v119
	v_mul_f32_e32 v215, v104, v119
	v_fma_f32 v214, v104, v118, -v109
	v_add_co_u32 v104, s1, 0x4000, v122
	v_fmac_f32_e32 v215, v105, v118
	v_add_co_ci_u32_e64 v105, s1, 0, v123, s1
	global_load_dwordx2 v[104:105], v[104:105], off offset:1760
	s_waitcnt vmcnt(0)
	v_mul_f32_e32 v109, v107, v105
	v_mul_f32_e32 v119, v106, v105
	v_fma_f32 v118, v106, v104, -v109
	v_add_nc_u32_e32 v109, 0x2800, v179
	v_fmac_f32_e32 v119, v107, v104
	ds_read2_b64 v[104:107], v109 offset0:43 offset1:169
	s_waitcnt lgkmcnt(0)
	v_mul_f32_e32 v110, v105, v112
	v_mul_f32_e32 v217, v104, v112
	v_fma_f32 v216, v104, v111, -v110
	v_add_co_u32 v104, s1, 0x6800, v122
	v_fmac_f32_e32 v217, v105, v111
	v_add_co_ci_u32_e64 v105, s1, 0, v123, s1
	s_clause 0x2
	global_load_dwordx2 v[110:111], v[104:105], off offset:88
	global_load_dwordx2 v[218:219], v[104:105], off offset:1096
	;; [unrolled: 1-line block ×3, first 2 shown]
	v_add_nc_u32_e32 v116, 0x3000, v179
	s_waitcnt vmcnt(2)
	v_mul_f32_e32 v104, v107, v111
	v_mul_f32_e32 v221, v106, v111
	v_fma_f32 v220, v106, v110, -v104
	v_fmac_f32_e32 v221, v107, v110
	ds_read2_b64 v[104:107], v206 offset0:120 offset1:246
	s_waitcnt lgkmcnt(0)
	v_mul_f32_e32 v110, v105, v211
	v_mul_f32_e32 v223, v104, v211
	v_fma_f32 v222, v104, v210, -v110
	s_waitcnt vmcnt(0)
	v_mul_f32_e32 v104, v107, v113
	v_fmac_f32_e32 v223, v105, v210
	v_fma_f32 v105, v106, v112, -v104
	v_mul_f32_e32 v106, v106, v113
	v_add_nc_u32_e32 v104, 0x1600, v179
	v_fmac_f32_e32 v106, v107, v112
	ds_read2_b64 v[110:113], v104 offset0:52 offset1:241
	s_waitcnt lgkmcnt(0)
	v_mul_f32_e32 v107, v113, v130
	v_mul_f32_e32 v211, v112, v130
	v_fma_f32 v210, v112, v129, -v107
	v_add_co_u32 v112, s1, 0x5000, v122
	v_fmac_f32_e32 v211, v113, v129
	v_add_co_ci_u32_e64 v113, s1, 0, v123, s1
	global_load_dwordx2 v[112:113], v[112:113], off offset:688
	s_waitcnt vmcnt(0)
	v_mul_f32_e32 v107, v111, v113
	v_mul_f32_e32 v123, v110, v113
	v_fma_f32 v122, v110, v112, -v107
	v_fmac_f32_e32 v123, v111, v112
	ds_read2_b64 v[110:113], v116 offset0:39 offset1:165
	ds_write2_b64 v125, v[210:211], v[127:128] offset0:49 offset1:175
	ds_write2_b64 v126, v[212:213], v[216:217] offset0:45 offset1:171
	s_waitcnt lgkmcnt(2)
	v_mul_f32_e32 v107, v111, v219
	v_mul_f32_e32 v130, v110, v219
	v_fma_f32 v129, v110, v218, -v107
	v_mul_f32_e32 v107, v113, v115
	v_fmac_f32_e32 v130, v111, v218
	v_mul_f32_e32 v111, v112, v115
	v_fma_f32 v110, v112, v114, -v107
	v_add_nc_u32_e32 v107, 0x800, v179
	v_add_nc_u32_e32 v112, 0x1000, v179
	v_fmac_f32_e32 v111, v113, v114
	ds_write2_b64 v107, v[118:119], v[222:223] offset0:122 offset1:248
	ds_write2_b64 v179, v[208:209], v[214:215] offset0:126 offset1:252
	;; [unrolled: 1-line block ×4, first 2 shown]
	ds_write_b64 v179, v[110:111] offset:13608
	s_and_saveexec_b32 s2, vcc_lo
	s_cbranch_execz .LBB0_13
; %bb.12:
	v_add_co_u32 v105, s1, 0x1800, v120
	v_add_co_ci_u32_e64 v106, s1, 0, v121, s1
	v_add_co_u32 v110, s1, 0x3800, v120
	v_add_co_ci_u32_e64 v111, s1, 0, v121, s1
	s_clause 0x1
	global_load_dwordx2 v[105:106], v[105:106], off offset:912
	global_load_dwordx2 v[110:111], v[110:111], off offset:280
	ds_read_b64 v[112:113], v179 offset:7056
	ds_read_b64 v[114:115], v179 offset:14616
	s_waitcnt vmcnt(1) lgkmcnt(1)
	v_mul_f32_e32 v117, v113, v106
	v_mul_f32_e32 v107, v112, v106
	s_waitcnt vmcnt(0) lgkmcnt(0)
	v_mul_f32_e32 v119, v115, v111
	v_mul_f32_e32 v118, v114, v111
	v_fma_f32 v106, v112, v105, -v117
	v_fmac_f32_e32 v107, v113, v105
	v_fma_f32 v117, v114, v110, -v119
	v_fmac_f32_e32 v118, v115, v110
	ds_write_b64 v179, v[106:107] offset:7056
	ds_write_b64 v179, v[117:118] offset:14616
.LBB0_13:
	s_or_b32 exec_lo, exec_lo, s2
	s_waitcnt lgkmcnt(0)
	s_barrier
	buffer_gl0_inv
	ds_read2_b64 v[124:127], v179 offset1:126
	ds_read2_b64 v[104:107], v104 offset0:52 offset1:241
	ds_read2_b64 v[128:131], v108 offset0:47 offset1:173
	;; [unrolled: 1-line block ×6, first 2 shown]
	v_add_nc_u32_e32 v206, 0x2760, v187
	v_add_nc_u32_e32 v187, 0x2f40, v187
	s_and_saveexec_b32 s1, vcc_lo
	s_cbranch_execz .LBB0_15
; %bb.14:
	ds_read_b64 v[177:178], v179 offset:7056
	ds_read_b64 v[175:176], v179 offset:14616
.LBB0_15:
	s_or_b32 exec_lo, exec_lo, s1
	s_waitcnt lgkmcnt(5)
	v_sub_f32_e32 v209, v124, v106
	v_sub_f32_e32 v210, v125, v107
	s_waitcnt lgkmcnt(3)
	v_sub_f32_e32 v213, v112, v130
	v_sub_f32_e32 v214, v113, v131
	;; [unrolled: 1-line block ×4, first 2 shown]
	s_waitcnt lgkmcnt(2)
	v_sub_f32_e32 v217, v114, v120
	v_sub_f32_e32 v218, v115, v121
	s_waitcnt lgkmcnt(1)
	v_sub_f32_e32 v122, v108, v122
	v_sub_f32_e32 v123, v109, v123
	v_fma_f32 v207, v124, 2.0, -v209
	v_fma_f32 v208, v125, 2.0, -v210
	;; [unrolled: 1-line block ×4, first 2 shown]
	s_waitcnt lgkmcnt(0)
	v_sub_f32_e32 v112, v110, v116
	v_sub_f32_e32 v113, v111, v117
	;; [unrolled: 1-line block ×6, first 2 shown]
	v_fma_f32 v126, v126, 2.0, -v128
	v_fma_f32 v127, v127, 2.0, -v129
	;; [unrolled: 1-line block ×10, first 2 shown]
	s_barrier
	buffer_gl0_inv
	ds_write_b128 v181, v[207:210]
	ds_write_b128 v183, v[126:129]
	ds_write_b128 v184, v[211:214]
	ds_write_b128 v185, v[215:218]
	ds_write_b128 v186, v[120:123]
	ds_write_b128 v206, v[110:113]
	ds_write_b128 v187, v[114:117]
	s_and_saveexec_b32 s1, vcc_lo
	s_cbranch_execz .LBB0_17
; %bb.16:
	v_fma_f32 v105, v178, 2.0, -v107
	v_fma_f32 v104, v177, 2.0, -v106
	ds_write_b128 v182, v[104:107]
.LBB0_17:
	s_or_b32 exec_lo, exec_lo, s1
	v_add_nc_u32_e32 v104, 0xc00, v179
	v_add_nc_u32_e32 v105, 0x2400, v179
	;; [unrolled: 1-line block ×3, first 2 shown]
	s_waitcnt lgkmcnt(0)
	s_barrier
	buffer_gl0_inv
	ds_read2_b64 v[112:115], v104 offset0:120 offset1:246
	ds_read2_b64 v[116:119], v105 offset0:108 offset1:234
	;; [unrolled: 1-line block ×3, first 2 shown]
	v_add_nc_u32_e32 v110, 0x400, v179
	v_add_nc_u32_e32 v111, 0x2c00, v179
	v_add_nc_u32_e32 v108, 0x1c00, v179
	ds_read2_b64 v[124:127], v179 offset1:126
	ds_read_b64 v[185:186], v179 offset:14112
	ds_read2_b64 v[128:131], v110 offset0:124 offset1:250
	ds_read2_b64 v[175:178], v111 offset0:104 offset1:230
	;; [unrolled: 1-line block ×3, first 2 shown]
	s_waitcnt lgkmcnt(0)
	s_barrier
	buffer_gl0_inv
	v_mul_f32_e32 v187, v1, v115
	v_mul_f32_e32 v206, v1, v114
	;; [unrolled: 1-line block ×7, first 2 shown]
	v_fmac_f32_e32 v187, v0, v114
	v_fma_f32 v114, v0, v115, -v206
	v_fmac_f32_e32 v207, v2, v116
	v_fma_f32 v115, v2, v117, -v208
	v_fma_f32 v117, v0, v121, -v210
	v_fmac_f32_e32 v211, v2, v118
	v_mul_f32_e32 v116, v1, v122
	v_mul_f32_e32 v208, v3, v176
	;; [unrolled: 1-line block ×6, first 2 shown]
	v_fma_f32 v121, v0, v123, -v116
	v_fmac_f32_e32 v208, v2, v175
	v_mul_f32_e32 v116, v1, v181
	v_fma_f32 v123, v2, v176, -v118
	v_mul_f32_e32 v175, v3, v178
	v_fmac_f32_e32 v210, v0, v181
	v_mul_f32_e32 v118, v3, v177
	v_mul_f32_e32 v181, v1, v184
	;; [unrolled: 1-line block ×3, first 2 shown]
	v_fmac_f32_e32 v209, v0, v120
	v_fmac_f32_e32 v206, v0, v122
	v_fma_f32 v176, v0, v182, -v116
	v_fmac_f32_e32 v175, v2, v177
	v_fma_f32 v177, v2, v178, -v118
	v_mul_f32_e32 v178, v3, v186
	v_fmac_f32_e32 v181, v0, v183
	v_mul_f32_e32 v3, v3, v185
	v_fma_f32 v182, v0, v184, -v1
	v_add_f32_e32 v0, v187, v207
	v_add_f32_e32 v1, v124, v187
	v_sub_f32_e32 v116, v114, v115
	v_fma_f32 v183, v2, v186, -v3
	v_add_f32_e32 v3, v114, v115
	v_fma_f32 v0, -0.5, v0, v124
	v_fma_f32 v119, v2, v119, -v212
	v_fmac_f32_e32 v178, v2, v185
	v_add_f32_e32 v2, v1, v207
	v_add_f32_e32 v118, v125, v114
	v_fma_f32 v1, -0.5, v3, v125
	v_sub_f32_e32 v120, v187, v207
	v_fmamk_f32 v114, v116, 0xbf5db3d7, v0
	v_fmac_f32_e32 v0, 0x3f5db3d7, v116
	v_add_f32_e32 v116, v209, v211
	v_add_f32_e32 v3, v118, v115
	v_fmamk_f32 v115, v120, 0x3f5db3d7, v1
	v_add_f32_e32 v118, v126, v209
	v_fmac_f32_e32 v1, 0xbf5db3d7, v120
	v_add_f32_e32 v120, v117, v119
	v_fma_f32 v126, -0.5, v116, v126
	v_sub_f32_e32 v122, v117, v119
	v_add_f32_e32 v116, v118, v211
	v_add_f32_e32 v117, v127, v117
	v_fmac_f32_e32 v127, -0.5, v120
	v_sub_f32_e32 v120, v209, v211
	v_fmamk_f32 v118, v122, 0xbf5db3d7, v126
	v_fmac_f32_e32 v126, 0x3f5db3d7, v122
	v_add_f32_e32 v122, v206, v208
	v_add_f32_e32 v125, v121, v123
	;; [unrolled: 1-line block ×3, first 2 shown]
	v_fmamk_f32 v119, v120, 0x3f5db3d7, v127
	v_add_f32_e32 v124, v128, v206
	v_fmac_f32_e32 v127, 0xbf5db3d7, v120
	v_fma_f32 v120, -0.5, v122, v128
	v_sub_f32_e32 v128, v121, v123
	v_add_f32_e32 v184, v129, v121
	v_fma_f32 v121, -0.5, v125, v129
	v_sub_f32_e32 v129, v206, v208
	v_add_f32_e32 v122, v124, v208
	v_fmamk_f32 v124, v128, 0xbf5db3d7, v120
	v_fmac_f32_e32 v120, 0x3f5db3d7, v128
	v_add_f32_e32 v123, v184, v123
	v_add_f32_e32 v128, v210, v175
	v_fmamk_f32 v125, v129, 0x3f5db3d7, v121
	v_add_f32_e32 v184, v130, v210
	v_fmac_f32_e32 v121, 0xbf5db3d7, v129
	v_add_f32_e32 v129, v176, v177
	v_fma_f32 v130, -0.5, v128, v130
	v_sub_f32_e32 v185, v176, v177
	v_add_f32_e32 v128, v184, v175
	v_add_f32_e32 v176, v131, v176
	v_fmac_f32_e32 v131, -0.5, v129
	v_sub_f32_e32 v184, v210, v175
	v_fmamk_f32 v175, v185, 0xbf5db3d7, v130
	v_fmac_f32_e32 v130, 0x3f5db3d7, v185
	v_add_f32_e32 v129, v176, v177
	v_add_f32_e32 v177, v181, v178
	v_fmamk_f32 v176, v184, 0x3f5db3d7, v131
	v_fmac_f32_e32 v131, 0xbf5db3d7, v184
	v_add_f32_e32 v184, v182, v183
	v_add_f32_e32 v185, v112, v181
	v_fma_f32 v112, -0.5, v177, v112
	v_sub_f32_e32 v186, v182, v183
	v_add_f32_e32 v182, v113, v182
	v_fmac_f32_e32 v113, -0.5, v184
	v_sub_f32_e32 v184, v181, v178
	v_add_f32_e32 v177, v185, v178
	v_fmamk_f32 v181, v186, 0xbf5db3d7, v112
	v_fmac_f32_e32 v112, 0x3f5db3d7, v186
	v_add_f32_e32 v178, v182, v183
	v_fmamk_f32 v182, v184, 0x3f5db3d7, v113
	v_fmac_f32_e32 v113, 0xbf5db3d7, v184
	ds_write2_b64 v193, v[2:3], v[114:115] offset1:2
	ds_write_b64 v193, v[0:1] offset:32
	ds_write2_b64 v192, v[116:117], v[118:119] offset1:2
	ds_write_b64 v192, v[126:127] offset:32
	;; [unrolled: 2-line block ×5, first 2 shown]
	s_waitcnt lgkmcnt(0)
	s_barrier
	buffer_gl0_inv
	ds_read2_b64 v[0:3], v104 offset0:120 offset1:246
	ds_read2_b64 v[112:115], v105 offset0:108 offset1:234
	;; [unrolled: 1-line block ×3, first 2 shown]
	ds_read2_b64 v[120:123], v179 offset1:126
	ds_read2_b64 v[124:127], v110 offset0:124 offset1:250
	ds_read2_b64 v[128:131], v111 offset0:104 offset1:230
	;; [unrolled: 1-line block ×3, first 2 shown]
	ds_read_b64 v[181:182], v179 offset:14112
	s_waitcnt lgkmcnt(0)
	s_barrier
	buffer_gl0_inv
	v_mul_f32_e32 v183, v33, v3
	v_mul_f32_e32 v33, v33, v2
	;; [unrolled: 1-line block ×3, first 2 shown]
	v_fmac_f32_e32 v183, v32, v2
	v_mul_f32_e32 v2, v35, v112
	v_fma_f32 v3, v32, v3, -v33
	v_fmac_f32_e32 v184, v34, v112
	v_mul_f32_e32 v32, v29, v117
	v_mul_f32_e32 v29, v29, v116
	v_fma_f32 v33, v34, v113, -v2
	v_mul_f32_e32 v34, v31, v115
	v_mul_f32_e32 v2, v31, v114
	;; [unrolled: 1-line block ×3, first 2 shown]
	v_fmac_f32_e32 v32, v28, v116
	v_fma_f32 v28, v28, v117, -v29
	v_fmac_f32_e32 v34, v30, v114
	v_fma_f32 v30, v30, v115, -v2
	v_mul_f32_e32 v2, v27, v128
	v_mul_f32_e32 v29, v25, v119
	v_mul_f32_e32 v35, v9, v176
	v_mul_f32_e32 v9, v9, v175
	v_mul_f32_e32 v114, v5, v178
	v_fma_f32 v27, v26, v129, -v2
	v_mul_f32_e32 v2, v11, v130
	v_mul_f32_e32 v5, v5, v177
	;; [unrolled: 1-line block ×4, first 2 shown]
	v_fmac_f32_e32 v29, v24, v118
	v_fma_f32 v115, v10, v131, -v2
	v_mul_f32_e32 v2, v7, v181
	v_mul_f32_e32 v112, v11, v131
	v_fma_f32 v113, v8, v176, -v9
	v_fmac_f32_e32 v114, v4, v177
	v_fma_f32 v117, v4, v178, -v5
	v_add_f32_e32 v4, v183, v184
	v_fmac_f32_e32 v116, v6, v181
	v_add_f32_e32 v5, v120, v183
	v_fma_f32 v118, v6, v182, -v2
	v_add_f32_e32 v6, v3, v33
	v_add_f32_e32 v9, v32, v34
	v_fma_f32 v25, v24, v119, -v25
	v_fmac_f32_e32 v31, v26, v128
	v_fmac_f32_e32 v35, v8, v175
	;; [unrolled: 1-line block ×3, first 2 shown]
	v_fma_f32 v2, -0.5, v4, v120
	v_sub_f32_e32 v7, v3, v33
	v_add_f32_e32 v4, v5, v184
	v_add_f32_e32 v5, v121, v3
	v_fma_f32 v3, -0.5, v6, v121
	v_sub_f32_e32 v8, v183, v184
	v_add_f32_e32 v10, v122, v32
	v_add_f32_e32 v11, v28, v30
	v_fma_f32 v122, -0.5, v9, v122
	v_sub_f32_e32 v9, v28, v30
	v_add_f32_e32 v24, v123, v28
	v_fmamk_f32 v6, v7, 0xbf5db3d7, v2
	v_fmac_f32_e32 v2, 0x3f5db3d7, v7
	v_add_f32_e32 v5, v5, v33
	v_fmamk_f32 v7, v8, 0x3f5db3d7, v3
	v_fmac_f32_e32 v3, 0xbf5db3d7, v8
	v_add_f32_e32 v8, v10, v34
	v_fmac_f32_e32 v123, -0.5, v11
	v_sub_f32_e32 v26, v32, v34
	v_fmamk_f32 v10, v9, 0xbf5db3d7, v122
	v_fmac_f32_e32 v122, 0x3f5db3d7, v9
	v_add_f32_e32 v9, v24, v30
	v_add_f32_e32 v24, v29, v31
	;; [unrolled: 1-line block ×5, first 2 shown]
	v_fmamk_f32 v11, v26, 0x3f5db3d7, v123
	v_fmac_f32_e32 v123, 0xbf5db3d7, v26
	v_fma_f32 v24, -0.5, v24, v124
	v_sub_f32_e32 v32, v25, v27
	v_add_f32_e32 v26, v28, v31
	v_fma_f32 v25, -0.5, v30, v125
	v_sub_f32_e32 v30, v29, v31
	v_add_f32_e32 v27, v33, v27
	v_add_f32_e32 v31, v35, v112
	v_add_f32_e32 v33, v113, v115
	v_fmamk_f32 v28, v32, 0xbf5db3d7, v24
	v_fmac_f32_e32 v24, 0x3f5db3d7, v32
	v_add_f32_e32 v32, v126, v35
	v_fma_f32 v126, -0.5, v31, v126
	v_sub_f32_e32 v31, v113, v115
	v_add_f32_e32 v34, v127, v113
	v_fmac_f32_e32 v127, -0.5, v33
	v_sub_f32_e32 v35, v35, v112
	v_fmamk_f32 v29, v30, 0x3f5db3d7, v25
	v_fmac_f32_e32 v25, 0xbf5db3d7, v30
	v_add_f32_e32 v30, v32, v112
	v_fmamk_f32 v32, v31, 0xbf5db3d7, v126
	v_fmac_f32_e32 v126, 0x3f5db3d7, v31
	v_add_f32_e32 v31, v34, v115
	v_add_f32_e32 v34, v114, v116
	v_fmamk_f32 v33, v35, 0x3f5db3d7, v127
	v_fmac_f32_e32 v127, 0xbf5db3d7, v35
	v_add_f32_e32 v35, v117, v118
	v_add_f32_e32 v112, v0, v114
	v_fma_f32 v0, -0.5, v34, v0
	v_sub_f32_e32 v113, v117, v118
	v_add_f32_e32 v115, v1, v117
	v_fmac_f32_e32 v1, -0.5, v35
	v_sub_f32_e32 v114, v114, v116
	v_add_f32_e32 v34, v112, v116
	v_fmamk_f32 v112, v113, 0xbf5db3d7, v0
	v_fmac_f32_e32 v0, 0x3f5db3d7, v113
	v_add_f32_e32 v35, v115, v118
	v_fmamk_f32 v113, v114, 0x3f5db3d7, v1
	v_fmac_f32_e32 v1, 0xbf5db3d7, v114
	ds_write2_b64 v198, v[4:5], v[6:7] offset1:6
	ds_write_b64 v198, v[2:3] offset:96
	ds_write2_b64 v197, v[8:9], v[10:11] offset1:6
	ds_write_b64 v197, v[122:123] offset:96
	;; [unrolled: 2-line block ×5, first 2 shown]
	s_waitcnt lgkmcnt(0)
	s_barrier
	buffer_gl0_inv
	ds_read2_b64 v[0:3], v104 offset0:120 offset1:246
	ds_read2_b64 v[4:7], v105 offset0:108 offset1:234
	;; [unrolled: 1-line block ×3, first 2 shown]
	ds_read2_b64 v[24:27], v179 offset1:126
	ds_read2_b64 v[28:31], v110 offset0:124 offset1:250
	ds_read2_b64 v[32:35], v111 offset0:104 offset1:230
	;; [unrolled: 1-line block ×3, first 2 shown]
	ds_read_b64 v[104:105], v179 offset:14112
	s_waitcnt lgkmcnt(0)
	s_barrier
	buffer_gl0_inv
	v_mul_f32_e32 v112, v53, v3
	v_mul_f32_e32 v53, v53, v2
	;; [unrolled: 1-line block ×3, first 2 shown]
	v_fmac_f32_e32 v112, v52, v2
	v_mul_f32_e32 v2, v55, v4
	v_fma_f32 v3, v52, v3, -v53
	v_mul_f32_e32 v52, v49, v9
	v_fmac_f32_e32 v113, v54, v4
	v_mul_f32_e32 v4, v49, v8
	v_fma_f32 v5, v54, v5, -v2
	v_mul_f32_e32 v49, v51, v7
	;; [unrolled: 4-line block ×3, first 2 shown]
	v_mul_f32_e32 v4, v45, v10
	v_fmac_f32_e32 v49, v50, v6
	v_fma_f32 v45, v50, v7, -v2
	v_mul_f32_e32 v50, v47, v33
	v_fmac_f32_e32 v48, v44, v10
	v_mul_f32_e32 v2, v47, v32
	v_fma_f32 v44, v44, v11, -v4
	v_mul_f32_e32 v47, v41, v109
	v_mul_f32_e32 v4, v41, v108
	;; [unrolled: 1-line block ×3, first 2 shown]
	v_fma_f32 v33, v46, v33, -v2
	v_mul_f32_e32 v2, v43, v34
	v_fmac_f32_e32 v47, v40, v108
	v_fma_f32 v40, v40, v109, -v4
	v_mul_f32_e32 v4, v37, v110
	v_fmac_f32_e32 v41, v42, v34
	v_fma_f32 v35, v42, v35, -v2
	v_mul_f32_e32 v42, v39, v105
	v_mul_f32_e32 v2, v39, v104
	v_fma_f32 v39, v36, v111, -v4
	v_add_f32_e32 v4, v112, v113
	v_fmac_f32_e32 v50, v46, v32
	v_add_f32_e32 v6, v24, v112
	v_fma_f32 v46, v38, v105, -v2
	v_add_f32_e32 v7, v3, v5
	v_fma_f32 v2, -0.5, v4, v24
	v_sub_f32_e32 v8, v3, v5
	v_add_f32_e32 v4, v6, v113
	v_add_f32_e32 v10, v25, v3
	v_fma_f32 v3, -0.5, v7, v25
	v_sub_f32_e32 v11, v112, v113
	v_fmamk_f32 v6, v8, 0xbf5db3d7, v2
	v_fmac_f32_e32 v2, 0x3f5db3d7, v8
	v_add_f32_e32 v8, v52, v49
	v_add_f32_e32 v5, v10, v5
	v_fmamk_f32 v7, v11, 0x3f5db3d7, v3
	v_add_f32_e32 v10, v26, v52
	v_fmac_f32_e32 v3, 0xbf5db3d7, v11
	v_add_f32_e32 v11, v9, v45
	v_fma_f32 v26, -0.5, v8, v26
	v_sub_f32_e32 v24, v9, v45
	v_add_f32_e32 v8, v10, v49
	v_add_f32_e32 v9, v27, v9
	v_fmac_f32_e32 v27, -0.5, v11
	v_sub_f32_e32 v25, v52, v49
	v_fmamk_f32 v10, v24, 0xbf5db3d7, v26
	v_fmac_f32_e32 v26, 0x3f5db3d7, v24
	v_add_f32_e32 v24, v48, v50
	v_mul_f32_e32 v43, v37, v111
	v_fmamk_f32 v11, v25, 0x3f5db3d7, v27
	v_add_f32_e32 v32, v28, v48
	v_fmac_f32_e32 v27, 0xbf5db3d7, v25
	v_add_f32_e32 v25, v44, v33
	v_fma_f32 v24, -0.5, v24, v28
	v_sub_f32_e32 v34, v44, v33
	v_fmac_f32_e32 v43, v36, v110
	v_add_f32_e32 v28, v32, v50
	v_add_f32_e32 v36, v29, v44
	v_fma_f32 v25, -0.5, v25, v29
	v_sub_f32_e32 v37, v48, v50
	v_fmamk_f32 v32, v34, 0xbf5db3d7, v24
	v_fmac_f32_e32 v24, 0x3f5db3d7, v34
	v_add_f32_e32 v34, v47, v41
	v_fmac_f32_e32 v42, v38, v104
	v_add_f32_e32 v29, v36, v33
	v_fmamk_f32 v33, v37, 0x3f5db3d7, v25
	v_add_f32_e32 v36, v30, v47
	v_fmac_f32_e32 v25, 0xbf5db3d7, v37
	v_add_f32_e32 v37, v40, v35
	v_fma_f32 v30, -0.5, v34, v30
	v_sub_f32_e32 v38, v40, v35
	v_add_f32_e32 v40, v31, v40
	v_add_f32_e32 v34, v36, v41
	v_fmac_f32_e32 v31, -0.5, v37
	v_sub_f32_e32 v41, v47, v41
	v_fmamk_f32 v36, v38, 0xbf5db3d7, v30
	v_fmac_f32_e32 v30, 0x3f5db3d7, v38
	v_add_f32_e32 v35, v40, v35
	v_add_f32_e32 v38, v43, v42
	;; [unrolled: 1-line block ×3, first 2 shown]
	v_fmamk_f32 v37, v41, 0x3f5db3d7, v31
	v_fmac_f32_e32 v31, 0xbf5db3d7, v41
	v_add_f32_e32 v41, v0, v43
	v_fma_f32 v0, -0.5, v38, v0
	v_sub_f32_e32 v44, v39, v46
	v_add_f32_e32 v39, v1, v39
	v_fmac_f32_e32 v1, -0.5, v40
	v_sub_f32_e32 v43, v43, v42
	v_add_f32_e32 v9, v9, v45
	v_add_f32_e32 v38, v41, v42
	v_fmamk_f32 v40, v44, 0xbf5db3d7, v0
	v_fmac_f32_e32 v0, 0x3f5db3d7, v44
	v_add_f32_e32 v39, v39, v46
	v_fmamk_f32 v41, v43, 0x3f5db3d7, v1
	v_fmac_f32_e32 v1, 0xbf5db3d7, v43
	ds_write2_b64 v203, v[4:5], v[6:7] offset1:18
	ds_write_b64 v203, v[2:3] offset:288
	ds_write2_b64 v202, v[8:9], v[10:11] offset1:18
	ds_write_b64 v202, v[26:27] offset:288
	;; [unrolled: 2-line block ×5, first 2 shown]
	v_add_nc_u32_e32 v6, 0x800, v179
	s_waitcnt lgkmcnt(0)
	s_barrier
	buffer_gl0_inv
	ds_read2_b64 v[2:5], v179 offset1:126
	ds_read2_b64 v[32:35], v6 offset0:14 offset1:140
	v_add_nc_u32_e32 v6, 0x1000, v179
	v_add_nc_u32_e32 v7, 0x1800, v179
	;; [unrolled: 1-line block ×5, first 2 shown]
	ds_read2_b64 v[40:43], v6 offset0:28 offset1:154
	ds_read2_b64 v[36:39], v7 offset0:42 offset1:168
	;; [unrolled: 1-line block ×5, first 2 shown]
	s_and_saveexec_b32 s1, s0
	s_cbranch_execz .LBB0_19
; %bb.18:
	ds_read_b64 v[0:1], v179 offset:2016
	ds_read_b64 v[106:107], v179 offset:4176
	;; [unrolled: 1-line block ×7, first 2 shown]
.LBB0_19:
	s_or_b32 exec_lo, exec_lo, s1
	s_waitcnt lgkmcnt(5)
	v_mul_f32_e32 v10, v69, v33
	v_mul_f32_e32 v11, v69, v32
	s_waitcnt lgkmcnt(4)
	v_mul_f32_e32 v44, v71, v41
	v_mul_f32_e32 v45, v71, v40
	s_waitcnt lgkmcnt(1)
	v_mul_f32_e32 v46, v73, v25
	v_fmac_f32_e32 v10, v68, v32
	v_fma_f32 v11, v68, v33, -v11
	v_fmac_f32_e32 v44, v70, v40
	v_fma_f32 v32, v70, v41, -v45
	v_mul_f32_e32 v33, v77, v37
	v_mul_f32_e32 v40, v77, v36
	;; [unrolled: 1-line block ×4, first 2 shown]
	v_fmac_f32_e32 v46, v72, v24
	v_fmac_f32_e32 v33, v76, v36
	v_fma_f32 v36, v76, v37, -v40
	v_fmac_f32_e32 v41, v78, v28
	v_fma_f32 v28, v78, v29, -v45
	v_mul_f32_e32 v24, v73, v24
	s_waitcnt lgkmcnt(0)
	v_mul_f32_e32 v29, v75, v7
	v_mul_f32_e32 v37, v75, v6
	;; [unrolled: 1-line block ×4, first 2 shown]
	v_fma_f32 v24, v72, v25, -v24
	v_fmac_f32_e32 v29, v74, v6
	v_fma_f32 v6, v74, v7, -v37
	v_fmac_f32_e32 v40, v64, v34
	v_fma_f32 v34, v64, v35, -v45
	v_mul_f32_e32 v35, v67, v43
	v_mul_f32_e32 v7, v67, v42
	;; [unrolled: 1-line block ×5, first 2 shown]
	v_fmac_f32_e32 v35, v66, v42
	v_fma_f32 v42, v66, v43, -v7
	v_fmac_f32_e32 v37, v60, v38
	v_fma_f32 v38, v60, v39, -v25
	v_mul_f32_e32 v7, v63, v30
	v_mul_f32_e32 v39, v59, v9
	;; [unrolled: 1-line block ×3, first 2 shown]
	v_fmac_f32_e32 v45, v62, v30
	v_mul_f32_e32 v30, v57, v27
	v_mul_f32_e32 v25, v57, v26
	v_fma_f32 v31, v62, v31, -v7
	v_fmac_f32_e32 v39, v58, v8
	v_fma_f32 v43, v58, v9, -v43
	v_add_f32_e32 v7, v10, v29
	v_add_f32_e32 v8, v11, v6
	v_sub_f32_e32 v9, v10, v29
	v_sub_f32_e32 v6, v11, v6
	v_add_f32_e32 v10, v44, v46
	v_add_f32_e32 v11, v32, v24
	v_fmac_f32_e32 v30, v56, v26
	v_fma_f32 v47, v56, v27, -v25
	v_sub_f32_e32 v25, v44, v46
	v_sub_f32_e32 v24, v32, v24
	v_add_f32_e32 v26, v33, v41
	v_add_f32_e32 v27, v36, v28
	v_sub_f32_e32 v29, v41, v33
	v_sub_f32_e32 v28, v28, v36
	v_add_f32_e32 v32, v10, v7
	v_add_f32_e32 v33, v11, v8
	v_sub_f32_e32 v36, v10, v7
	v_sub_f32_e32 v41, v11, v8
	v_sub_f32_e32 v7, v7, v26
	v_sub_f32_e32 v8, v8, v27
	v_sub_f32_e32 v10, v26, v10
	v_sub_f32_e32 v11, v27, v11
	v_add_f32_e32 v44, v29, v25
	v_add_f32_e32 v46, v28, v24
	v_sub_f32_e32 v48, v29, v25
	v_sub_f32_e32 v49, v28, v24
	;; [unrolled: 1-line block ×3, first 2 shown]
	v_add_f32_e32 v26, v26, v32
	v_add_f32_e32 v27, v27, v33
	v_sub_f32_e32 v29, v9, v29
	v_sub_f32_e32 v28, v6, v28
	v_sub_f32_e32 v24, v24, v6
	v_add_f32_e32 v9, v44, v9
	v_add_f32_e32 v6, v46, v6
	v_add_f32_e32 v2, v2, v26
	v_add_f32_e32 v3, v3, v27
	v_mul_f32_e32 v7, 0x3f4a47b2, v7
	v_mul_f32_e32 v8, 0x3f4a47b2, v8
	;; [unrolled: 1-line block ×8, first 2 shown]
	v_fmamk_f32 v26, v26, 0xbf955555, v2
	v_fmamk_f32 v27, v27, 0xbf955555, v3
	;; [unrolled: 1-line block ×4, first 2 shown]
	v_fma_f32 v32, 0x3f3bfb3b, v36, -v32
	v_fma_f32 v33, 0x3f3bfb3b, v41, -v33
	;; [unrolled: 1-line block ×4, first 2 shown]
	v_fmamk_f32 v36, v29, 0xbeae86e6, v44
	v_fma_f32 v25, 0xbf5ff5aa, v25, -v44
	v_fma_f32 v24, 0xbf5ff5aa, v24, -v46
	;; [unrolled: 1-line block ×3, first 2 shown]
	v_fmamk_f32 v41, v28, 0xbeae86e6, v46
	v_fma_f32 v28, 0x3eae86e6, v28, -v49
	v_add_f32_e32 v46, v11, v27
	v_add_f32_e32 v32, v32, v26
	v_add_f32_e32 v33, v33, v27
	v_add_f32_e32 v27, v8, v27
	v_fmac_f32_e32 v36, 0xbee1c552, v9
	v_fmac_f32_e32 v25, 0xbee1c552, v9
	;; [unrolled: 1-line block ×4, first 2 shown]
	v_add_f32_e32 v44, v10, v26
	v_add_f32_e32 v26, v7, v26
	v_fmac_f32_e32 v41, 0xbee1c552, v6
	v_fmac_f32_e32 v28, 0xbee1c552, v6
	v_sub_f32_e32 v7, v46, v36
	v_sub_f32_e32 v9, v27, v29
	v_sub_f32_e32 v10, v32, v24
	v_add_f32_e32 v11, v25, v33
	v_add_f32_e32 v24, v24, v32
	v_sub_f32_e32 v25, v33, v25
	v_add_f32_e32 v27, v29, v27
	v_add_f32_e32 v29, v36, v46
	;; [unrolled: 1-line block ×4, first 2 shown]
	v_sub_f32_e32 v36, v40, v39
	v_add_f32_e32 v39, v35, v30
	v_add_f32_e32 v40, v42, v47
	;; [unrolled: 1-line block ×4, first 2 shown]
	v_sub_f32_e32 v26, v26, v28
	v_sub_f32_e32 v28, v44, v41
	;; [unrolled: 1-line block ×5, first 2 shown]
	v_add_f32_e32 v41, v37, v45
	v_add_f32_e32 v42, v38, v31
	v_sub_f32_e32 v37, v45, v37
	v_sub_f32_e32 v31, v31, v38
	v_add_f32_e32 v38, v39, v32
	v_add_f32_e32 v43, v40, v33
	v_sub_f32_e32 v44, v39, v32
	v_sub_f32_e32 v45, v40, v33
	;; [unrolled: 1-line block ×6, first 2 shown]
	v_add_f32_e32 v46, v37, v30
	v_add_f32_e32 v47, v31, v35
	v_sub_f32_e32 v48, v37, v30
	v_sub_f32_e32 v49, v31, v35
	v_add_f32_e32 v38, v41, v38
	v_add_f32_e32 v41, v42, v43
	v_sub_f32_e32 v30, v30, v36
	v_sub_f32_e32 v35, v35, v34
	;; [unrolled: 1-line block ×4, first 2 shown]
	v_add_f32_e32 v36, v46, v36
	v_add_f32_e32 v34, v47, v34
	;; [unrolled: 1-line block ×4, first 2 shown]
	v_mul_f32_e32 v32, 0x3f4a47b2, v32
	v_mul_f32_e32 v33, 0x3f4a47b2, v33
	;; [unrolled: 1-line block ×8, first 2 shown]
	v_fmamk_f32 v38, v38, 0xbf955555, v4
	v_fmamk_f32 v41, v41, 0xbf955555, v5
	;; [unrolled: 1-line block ×4, first 2 shown]
	v_fma_f32 v42, 0x3f3bfb3b, v44, -v42
	v_fma_f32 v43, 0x3f3bfb3b, v45, -v43
	;; [unrolled: 1-line block ×4, first 2 shown]
	v_fmamk_f32 v44, v37, 0xbeae86e6, v46
	v_fmamk_f32 v45, v31, 0xbeae86e6, v47
	v_fma_f32 v46, 0xbf5ff5aa, v30, -v46
	v_fma_f32 v47, 0xbf5ff5aa, v35, -v47
	;; [unrolled: 1-line block ×4, first 2 shown]
	v_add_f32_e32 v50, v39, v38
	v_add_f32_e32 v51, v40, v41
	v_fmac_f32_e32 v44, 0xbee1c552, v36
	v_fmac_f32_e32 v45, 0xbee1c552, v34
	v_add_f32_e32 v37, v42, v38
	v_add_f32_e32 v39, v43, v41
	;; [unrolled: 1-line block ×4, first 2 shown]
	v_fmac_f32_e32 v46, 0xbee1c552, v36
	v_fmac_f32_e32 v49, 0xbee1c552, v34
	;; [unrolled: 1-line block ×4, first 2 shown]
	v_add_nc_u32_e32 v42, 0x400, v205
	v_add_f32_e32 v30, v45, v50
	v_sub_f32_e32 v31, v51, v44
	v_add_f32_e32 v32, v49, v38
	v_sub_f32_e32 v33, v40, v48
	v_sub_f32_e32 v34, v37, v47
	v_add_f32_e32 v35, v46, v39
	v_add_f32_e32 v36, v47, v37
	v_sub_f32_e32 v37, v39, v46
	v_sub_f32_e32 v38, v38, v49
	v_add_f32_e32 v39, v48, v40
	s_barrier
	buffer_gl0_inv
	ds_write2_b64 v205, v[2:3], v[6:7] offset1:54
	ds_write2_b64 v205, v[8:9], v[10:11] offset0:108 offset1:162
	v_add_nc_u32_e32 v2, 0x400, v204
	v_sub_f32_e32 v40, v50, v45
	v_add_f32_e32 v41, v44, v51
	ds_write2_b64 v42, v[24:25], v[26:27] offset0:88 offset1:142
	ds_write_b64 v205, v[28:29] offset:2592
	ds_write2_b64 v204, v[4:5], v[30:31] offset1:54
	ds_write2_b64 v204, v[32:33], v[34:35] offset0:108 offset1:162
	ds_write2_b64 v2, v[36:37], v[38:39] offset0:88 offset1:142
	ds_write_b64 v204, v[40:41] offset:2592
	s_and_saveexec_b32 s1, s0
	s_cbranch_execz .LBB0_21
; %bb.20:
	v_mul_f32_e32 v2, v15, v170
	v_mul_f32_e32 v3, v13, v168
	;; [unrolled: 1-line block ×9, first 2 shown]
	v_fmac_f32_e32 v3, v12, v167
	v_mul_f32_e32 v6, v19, v166
	v_fmac_f32_e32 v4, v16, v106
	v_fma_f32 v7, v22, v174, -v7
	v_fma_f32 v9, v16, v107, -v9
	;; [unrolled: 1-line block ×6, first 2 shown]
	v_mul_f32_e32 v5, v23, v174
	v_fmac_f32_e32 v2, v14, v169
	v_fmac_f32_e32 v6, v18, v165
	v_mul_f32_e32 v10, v21, v172
	v_add_f32_e32 v14, v7, v9
	v_add_f32_e32 v15, v11, v16
	;; [unrolled: 1-line block ×3, first 2 shown]
	v_fmac_f32_e32 v5, v22, v173
	v_fmac_f32_e32 v10, v20, v171
	v_sub_f32_e32 v8, v2, v3
	v_add_f32_e32 v20, v15, v14
	v_sub_f32_e32 v22, v14, v18
	v_sub_f32_e32 v19, v4, v5
	v_add_f32_e32 v4, v5, v4
	v_add_f32_e32 v5, v10, v6
	;; [unrolled: 1-line block ×3, first 2 shown]
	v_mul_f32_e32 v22, 0x3f4a47b2, v22
	v_sub_f32_e32 v18, v18, v15
	v_sub_f32_e32 v17, v6, v10
	v_add_f32_e32 v2, v3, v2
	v_add_f32_e32 v1, v1, v20
	v_sub_f32_e32 v12, v13, v12
	v_fmamk_f32 v25, v18, 0x3d64c772, v22
	v_mul_f32_e32 v6, 0x3d64c772, v18
	v_add_f32_e32 v18, v5, v4
	v_sub_f32_e32 v21, v8, v17
	v_sub_f32_e32 v10, v4, v2
	v_sub_f32_e32 v11, v16, v11
	v_sub_f32_e32 v13, v2, v5
	v_add_f32_e32 v2, v2, v18
	v_sub_f32_e32 v7, v9, v7
	v_sub_f32_e32 v14, v15, v14
	;; [unrolled: 1-line block ×3, first 2 shown]
	v_mul_f32_e32 v21, 0x3f08b237, v21
	v_add_f32_e32 v8, v8, v17
	v_fmamk_f32 v20, v20, 0xbf955555, v1
	v_mul_f32_e32 v10, 0x3f4a47b2, v10
	v_sub_f32_e32 v9, v12, v11
	v_sub_f32_e32 v17, v17, v19
	v_add_f32_e32 v0, v0, v2
	v_sub_f32_e32 v18, v7, v12
	v_add_f32_e32 v12, v12, v11
	v_fma_f32 v22, 0xbf3bfb3b, v14, -v22
	v_sub_f32_e32 v11, v11, v7
	v_add_f32_e32 v8, v8, v19
	v_mul_f32_e32 v16, 0x3d64c772, v13
	v_mul_f32_e32 v9, 0x3f08b237, v9
	v_fmamk_f32 v13, v13, 0x3d64c772, v10
	v_mul_f32_e32 v19, 0xbf5ff5aa, v17
	v_fmamk_f32 v2, v2, 0xbf955555, v0
	v_sub_f32_e32 v4, v5, v4
	v_add_f32_e32 v7, v12, v7
	v_add_f32_e32 v12, v22, v20
	v_mul_f32_e32 v22, 0xbf5ff5aa, v11
	v_fma_f32 v6, 0x3f3bfb3b, v14, -v6
	v_fma_f32 v14, 0xbf5ff5aa, v17, -v21
	v_fmamk_f32 v24, v23, 0xbeae86e6, v21
	v_fmamk_f32 v15, v18, 0xbeae86e6, v9
	v_fma_f32 v19, 0x3eae86e6, v23, -v19
	v_fma_f32 v10, 0xbf3bfb3b, v4, -v10
	v_add_f32_e32 v23, v13, v2
	v_fma_f32 v13, 0x3eae86e6, v18, -v22
	v_fma_f32 v17, 0xbf5ff5aa, v11, -v9
	v_add_f32_e32 v6, v6, v20
	v_fmac_f32_e32 v14, 0xbee1c552, v8
	v_mov_b32_e32 v11, 3
	v_fma_f32 v4, 0x3f3bfb3b, v4, -v16
	v_fmac_f32_e32 v24, 0xbee1c552, v8
	v_add_f32_e32 v25, v25, v20
	v_fmac_f32_e32 v19, 0xbee1c552, v8
	v_fmac_f32_e32 v15, 0xbee1c552, v7
	v_add_f32_e32 v10, v10, v2
	v_fmac_f32_e32 v13, 0xbee1c552, v7
	v_fmac_f32_e32 v17, 0xbee1c552, v7
	v_sub_f32_e32 v7, v6, v14
	v_add_f32_e32 v9, v14, v6
	v_lshlrev_b32_sdwa v14, v11, v188 dst_sel:DWORD dst_unused:UNUSED_PAD src0_sel:DWORD src1_sel:WORD_0
	v_add_f32_e32 v2, v4, v2
	v_add_f32_e32 v5, v19, v12
	v_sub_f32_e32 v4, v10, v13
	v_sub_f32_e32 v11, v12, v19
	v_add_f32_e32 v10, v13, v10
	v_sub_f32_e32 v13, v25, v24
	v_add_f32_e32 v12, v15, v23
	v_add_nc_u32_e32 v16, 0x2c00, v14
	v_sub_f32_e32 v8, v2, v17
	v_add_nc_u32_e32 v18, 0x3000, v14
	v_add_f32_e32 v6, v17, v2
	v_add_f32_e32 v3, v24, v25
	v_sub_f32_e32 v2, v23, v15
	ds_write2_b64 v16, v[0:1], v[12:13] offset0:104 offset1:158
	ds_write2_b64 v18, v[10:11], v[8:9] offset0:84 offset1:138
	;; [unrolled: 1-line block ×3, first 2 shown]
	ds_write_b64 v14, v[2:3] offset:14688
.LBB0_21:
	s_or_b32 exec_lo, exec_lo, s1
	v_add_nc_u32_e32 v1, 0x400, v179
	v_add_nc_u32_e32 v0, 0x1400, v179
	s_waitcnt lgkmcnt(0)
	s_barrier
	buffer_gl0_inv
	v_add_nc_u32_e32 v10, 0x1c00, v179
	ds_read2_b64 v[2:5], v1 offset0:124 offset1:250
	v_add_nc_u32_e32 v14, 0x2c00, v179
	ds_read2_b64 v[6:9], v0 offset0:116 offset1:242
	v_add_nc_u32_e32 v0, 0xc00, v179
	v_add_nc_u32_e32 v26, 0x2400, v179
	ds_read2_b64 v[10:13], v10 offset0:112 offset1:238
	ds_read2_b64 v[14:17], v14 offset0:104 offset1:230
	;; [unrolled: 1-line block ×3, first 2 shown]
	ds_read2_b64 v[22:25], v179 offset1:126
	ds_read_b64 v[30:31], v179 offset:14112
	ds_read2_b64 v[26:29], v26 offset0:108 offset1:234
	s_mov_b32 s2, 0xbc011567
	s_mov_b32 s3, 0x3f41566a
	s_mul_hi_u32 s1, s8, 0x3b1
	s_waitcnt lgkmcnt(7)
	v_mul_f32_e32 v32, v85, v5
	v_mul_f32_e32 v33, v85, v4
	s_waitcnt lgkmcnt(6)
	v_mul_f32_e32 v34, v87, v7
	v_mul_f32_e32 v35, v87, v6
	s_waitcnt lgkmcnt(5)
	v_mul_f32_e32 v36, v81, v13
	s_waitcnt lgkmcnt(4)
	v_mul_f32_e32 v38, v83, v15
	v_mul_f32_e32 v39, v83, v14
	v_fmac_f32_e32 v32, v84, v4
	v_fma_f32 v33, v84, v5, -v33
	s_waitcnt lgkmcnt(3)
	v_mul_f32_e32 v4, v93, v18
	s_waitcnt lgkmcnt(0)
	v_mul_f32_e32 v41, v89, v27
	v_mul_f32_e32 v5, v89, v26
	v_fmac_f32_e32 v34, v86, v6
	v_fmac_f32_e32 v38, v82, v14
	v_fma_f32 v14, v82, v15, -v39
	v_fma_f32 v39, v92, v19, -v4
	v_mul_f32_e32 v4, v95, v8
	v_fmac_f32_e32 v41, v88, v26
	v_fma_f32 v26, v88, v27, -v5
	v_mul_f32_e32 v5, v97, v20
	v_mul_f32_e32 v6, v99, v10
	v_fmac_f32_e32 v36, v80, v12
	v_fma_f32 v43, v94, v9, -v4
	v_mul_f32_e32 v4, v91, v16
	v_fma_f32 v46, v96, v21, -v5
	v_fma_f32 v47, v98, v11, -v6
	v_mul_f32_e32 v5, v101, v28
	v_add_f32_e32 v6, v22, v32
	v_mul_f32_e32 v37, v81, v12
	v_mul_f32_e32 v40, v93, v19
	;; [unrolled: 1-line block ×4, first 2 shown]
	v_fma_f32 v45, v90, v17, -v4
	v_add_f32_e32 v4, v34, v36
	v_mul_f32_e32 v48, v101, v29
	v_fma_f32 v29, v100, v29, -v5
	v_add_f32_e32 v5, v6, v34
	v_fma_f32 v35, v86, v7, -v35
	v_fma_f32 v37, v80, v13, -v37
	v_mul_f32_e32 v42, v91, v17
	v_fmac_f32_e32 v19, v94, v8
	v_fmac_f32_e32 v44, v98, v10
	v_fma_f32 v4, -0.5, v4, v22
	v_sub_f32_e32 v7, v33, v14
	v_sub_f32_e32 v8, v32, v34
	;; [unrolled: 1-line block ×3, first 2 shown]
	v_add_f32_e32 v11, v32, v38
	v_add_f32_e32 v5, v5, v36
	v_fmac_f32_e32 v42, v90, v16
	v_fmamk_f32 v6, v7, 0xbf737871, v4
	v_sub_f32_e32 v9, v35, v37
	v_mul_f32_e32 v12, v103, v30
	v_add_f32_e32 v13, v8, v10
	v_fma_f32 v8, -0.5, v11, v22
	v_add_f32_e32 v10, v5, v38
	v_fmac_f32_e32 v4, 0x3f737871, v7
	v_sub_f32_e32 v5, v34, v32
	v_sub_f32_e32 v11, v36, v38
	v_add_f32_e32 v15, v23, v33
	v_add_f32_e32 v16, v35, v37
	v_fmac_f32_e32 v6, 0xbf167918, v9
	v_fma_f32 v50, v102, v31, -v12
	v_fmamk_f32 v12, v9, 0x3f737871, v8
	v_fmac_f32_e32 v4, 0x3f167918, v9
	v_add_f32_e32 v11, v5, v11
	v_fmac_f32_e32 v8, 0xbf737871, v9
	v_add_f32_e32 v9, v15, v35
	v_fma_f32 v5, -0.5, v16, v23
	v_sub_f32_e32 v15, v32, v38
	v_fmac_f32_e32 v40, v92, v18
	v_fmac_f32_e32 v6, 0x3e9e377a, v13
	;; [unrolled: 1-line block ×5, first 2 shown]
	v_add_f32_e32 v13, v9, v37
	v_fmamk_f32 v7, v15, 0x3f737871, v5
	v_add_f32_e32 v9, v33, v14
	v_sub_f32_e32 v16, v34, v36
	v_sub_f32_e32 v17, v33, v35
	;; [unrolled: 1-line block ×3, first 2 shown]
	v_fmac_f32_e32 v5, 0xbf737871, v15
	v_mul_f32_e32 v27, v97, v21
	v_fma_f32 v9, -0.5, v9, v23
	v_fmac_f32_e32 v7, 0x3f167918, v16
	v_add_f32_e32 v17, v17, v18
	v_fmac_f32_e32 v5, 0xbf167918, v16
	v_add_f32_e32 v21, v24, v40
	v_fmac_f32_e32 v27, v96, v20
	v_fmac_f32_e32 v48, v100, v28
	;; [unrolled: 1-line block ×4, first 2 shown]
	v_add_f32_e32 v11, v13, v14
	v_fmamk_f32 v13, v16, 0xbf737871, v9
	v_sub_f32_e32 v18, v35, v33
	v_sub_f32_e32 v14, v37, v14
	v_fmac_f32_e32 v7, 0x3e9e377a, v17
	v_add_f32_e32 v20, v19, v41
	v_fmac_f32_e32 v5, 0x3e9e377a, v17
	v_fmac_f32_e32 v9, 0x3f737871, v16
	v_add_f32_e32 v17, v21, v19
	v_add_f32_e32 v28, v40, v42
	v_mul_f32_e32 v49, v103, v31
	v_fmac_f32_e32 v13, 0x3f167918, v15
	v_add_f32_e32 v18, v18, v14
	v_fma_f32 v14, -0.5, v20, v24
	v_sub_f32_e32 v22, v39, v45
	v_sub_f32_e32 v21, v43, v26
	;; [unrolled: 1-line block ×4, first 2 shown]
	v_fmac_f32_e32 v9, 0xbf167918, v15
	v_add_f32_e32 v15, v17, v41
	v_fma_f32 v24, -0.5, v28, v24
	v_fmac_f32_e32 v49, v102, v30
	v_fmac_f32_e32 v13, 0x3e9e377a, v18
	v_fmamk_f32 v16, v22, 0xbf737871, v14
	v_add_f32_e32 v17, v20, v23
	v_fmac_f32_e32 v9, 0x3e9e377a, v18
	v_add_f32_e32 v18, v15, v42
	v_fmac_f32_e32 v14, 0x3f737871, v22
	v_fmamk_f32 v20, v21, 0x3f737871, v24
	v_sub_f32_e32 v15, v19, v40
	v_sub_f32_e32 v23, v41, v42
	v_add_f32_e32 v28, v25, v39
	v_add_f32_e32 v30, v43, v26
	v_fmac_f32_e32 v24, 0xbf737871, v21
	v_fmac_f32_e32 v16, 0xbf167918, v21
	;; [unrolled: 1-line block ×4, first 2 shown]
	v_add_f32_e32 v23, v15, v23
	v_add_f32_e32 v21, v28, v43
	v_fma_f32 v15, -0.5, v30, v25
	v_sub_f32_e32 v28, v40, v42
	v_fmac_f32_e32 v24, 0x3f167918, v22
	v_add_f32_e32 v22, v39, v45
	v_sub_f32_e32 v31, v39, v43
	v_sub_f32_e32 v32, v45, v26
	v_fmac_f32_e32 v16, 0x3e9e377a, v17
	v_fmac_f32_e32 v14, 0x3e9e377a, v17
	;; [unrolled: 1-line block ×3, first 2 shown]
	v_add_f32_e32 v21, v21, v26
	v_fmamk_f32 v17, v28, 0x3f737871, v15
	v_sub_f32_e32 v30, v19, v41
	v_fmac_f32_e32 v24, 0x3e9e377a, v23
	v_fmac_f32_e32 v25, -0.5, v22
	v_add_f32_e32 v23, v31, v32
	v_fmac_f32_e32 v15, 0xbf737871, v28
	v_sub_f32_e32 v22, v43, v39
	v_sub_f32_e32 v26, v26, v45
	v_add_f32_e32 v31, v44, v48
	v_add_f32_e32 v19, v21, v45
	v_fmac_f32_e32 v17, 0x3f167918, v30
	v_fmamk_f32 v21, v30, 0xbf737871, v25
	v_fmac_f32_e32 v15, 0xbf167918, v30
	v_add_f32_e32 v32, v22, v26
	v_fmac_f32_e32 v25, 0x3f737871, v30
	v_add_f32_e32 v26, v2, v27
	v_fma_f32 v22, -0.5, v31, v2
	v_sub_f32_e32 v31, v46, v50
	v_fmac_f32_e32 v17, 0x3e9e377a, v23
	v_fmac_f32_e32 v21, 0x3f167918, v28
	;; [unrolled: 1-line block ×4, first 2 shown]
	v_add_f32_e32 v23, v26, v44
	v_fmamk_f32 v26, v31, 0xbf737871, v22
	v_sub_f32_e32 v33, v47, v29
	v_sub_f32_e32 v28, v27, v44
	v_sub_f32_e32 v30, v49, v48
	v_fmac_f32_e32 v22, 0x3f737871, v31
	v_add_f32_e32 v34, v27, v49
	v_fmac_f32_e32 v26, 0xbf167918, v33
	v_add_f32_e32 v23, v23, v48
	v_add_f32_e32 v30, v28, v30
	v_fmac_f32_e32 v22, 0x3f167918, v33
	v_fma_f32 v2, -0.5, v34, v2
	v_fmac_f32_e32 v21, 0x3e9e377a, v32
	v_fmac_f32_e32 v25, 0x3e9e377a, v32
	v_fmac_f32_e32 v26, 0x3e9e377a, v30
	v_fmac_f32_e32 v22, 0x3e9e377a, v30
	v_fmamk_f32 v30, v33, 0x3f737871, v2
	v_fmac_f32_e32 v2, 0xbf737871, v33
	v_add_f32_e32 v33, v3, v46
	v_add_f32_e32 v28, v23, v49
	;; [unrolled: 1-line block ×3, first 2 shown]
	v_sub_f32_e32 v32, v44, v27
	v_sub_f32_e32 v34, v48, v49
	v_fmac_f32_e32 v30, 0xbf167918, v31
	v_fmac_f32_e32 v2, 0x3f167918, v31
	v_add_f32_e32 v31, v33, v47
	v_add_f32_e32 v33, v46, v50
	v_fma_f32 v23, -0.5, v23, v3
	v_sub_f32_e32 v35, v27, v49
	v_add_f32_e32 v32, v32, v34
	v_sub_f32_e32 v34, v44, v48
	v_fmac_f32_e32 v3, -0.5, v33
	v_sub_f32_e32 v36, v50, v29
	v_fmamk_f32 v27, v35, 0x3f737871, v23
	v_fmac_f32_e32 v30, 0x3e9e377a, v32
	v_fmac_f32_e32 v2, 0x3e9e377a, v32
	v_add_f32_e32 v32, v31, v29
	v_fmac_f32_e32 v23, 0xbf737871, v35
	v_fmamk_f32 v31, v34, 0xbf737871, v3
	v_sub_f32_e32 v37, v47, v46
	v_sub_f32_e32 v29, v29, v50
	v_fmac_f32_e32 v3, 0x3f737871, v34
	v_sub_f32_e32 v33, v46, v47
	v_fmac_f32_e32 v27, 0x3f167918, v34
	v_fmac_f32_e32 v23, 0xbf167918, v34
	v_add_f32_e32 v34, v37, v29
	v_fmac_f32_e32 v3, 0xbf167918, v35
	v_add_f32_e32 v33, v33, v36
	v_fmac_f32_e32 v31, 0x3f167918, v35
	v_add_f32_e32 v29, v32, v50
	v_fmac_f32_e32 v3, 0x3e9e377a, v34
	v_fmac_f32_e32 v27, 0x3e9e377a, v33
	;; [unrolled: 1-line block ×4, first 2 shown]
	ds_write_b64 v179, v[6:7] offset:3024
	ds_write_b64 v179, v[12:13] offset:6048
	;; [unrolled: 1-line block ×4, first 2 shown]
	ds_write2_b64 v179, v[10:11], v[18:19] offset1:126
	ds_write_b64 v179, v[20:21] offset:7056
	ds_write_b64 v179, v[24:25] offset:10080
	;; [unrolled: 1-line block ×4, first 2 shown]
	ds_write2_b64 v0, v[16:17], v[26:27] offset0:120 offset1:246
	ds_write_b64 v179, v[30:31] offset:8064
	ds_write_b64 v179, v[2:3] offset:11088
	;; [unrolled: 1-line block ×3, first 2 shown]
	s_waitcnt lgkmcnt(0)
	s_barrier
	buffer_gl0_inv
	ds_read2_b64 v[2:5], v179 offset1:126
	v_add_nc_u32_e32 v6, 0x1600, v179
	v_mad_u64_u32 v[12:13], null, s10, v140, 0
	v_mad_u64_u32 v[16:17], null, s8, v180, 0
	ds_read2_b64 v[6:9], v6 offset0:52 offset1:241
	s_waitcnt lgkmcnt(1)
	v_mul_f32_e32 v10, v156, v3
	v_mul_f32_e32 v11, v156, v2
	v_fmac_f32_e32 v10, v155, v2
	v_fma_f32 v11, v155, v3, -v11
	s_waitcnt lgkmcnt(0)
	v_mul_f32_e32 v18, v162, v9
	v_mul_f32_e32 v37, v144, v6
	;; [unrolled: 1-line block ×3, first 2 shown]
	v_cvt_f64_f32_e32 v[2:3], v10
	v_cvt_f64_f32_e32 v[10:11], v11
	v_fmac_f32_e32 v18, v161, v8
	v_mul_f32_e32 v8, v162, v8
	v_fma_f32 v37, v143, v7, -v37
	v_fmac_f32_e32 v36, v143, v6
	v_cvt_f64_f32_e32 v[18:19], v18
	v_fma_f32 v8, v161, v9, -v8
	v_add_nc_u32_e32 v9, 0x2000, v179
	v_cvt_f64_f32_e32 v[20:21], v8
	v_mul_f64 v[2:3], v[2:3], s[2:3]
	v_mul_f64 v[14:15], v[10:11], s[2:3]
	ds_read2_b64 v[8:11], v9 offset0:47 offset1:173
	v_mad_u64_u32 v[22:23], null, s11, v140, v[13:14]
	v_mad_u64_u32 v[23:24], null, s9, v180, v[17:18]
	v_cvt_f32_f64_e32 v24, v[2:3]
	v_mul_f32_e32 v2, v150, v5
	v_mul_f32_e32 v3, v150, v4
	v_cvt_f32_f64_e32 v25, v[14:15]
	v_mul_f64 v[14:15], v[18:19], s[2:3]
	v_mul_f64 v[18:19], v[20:21], s[2:3]
	v_mov_b32_e32 v13, v22
	s_waitcnt lgkmcnt(0)
	v_mul_f32_e32 v22, v160, v9
	v_mul_f32_e32 v20, v160, v8
	v_fmac_f32_e32 v2, v149, v4
	v_fma_f32 v3, v149, v5, -v3
	v_mov_b32_e32 v17, v23
	v_fmac_f32_e32 v22, v159, v8
	v_fma_f32 v5, v159, v9, -v20
	v_cvt_f64_f32_e32 v[8:9], v2
	v_cvt_f64_f32_e32 v[20:21], v3
	ds_read2_b64 v[1:4], v1 offset0:124 offset1:250
	v_lshlrev_b64 v[12:13], 3, v[12:13]
	v_cvt_f64_f32_e32 v[22:23], v22
	v_lshlrev_b64 v[16:17], 3, v[16:17]
	v_cvt_f64_f32_e32 v[26:27], v5
	v_add_co_u32 v5, s0, s6, v12
	v_add_co_ci_u32_e64 v13, s0, s7, v13, s0
	v_cvt_f32_f64_e32 v14, v[14:15]
	v_add_co_u32 v12, s0, v5, v16
	v_cvt_f32_f64_e32 v15, v[18:19]
	v_add_co_ci_u32_e64 v13, s0, v13, v17, s0
	s_mul_i32 s0, s9, 0x3b1
	s_add_i32 s1, s1, s0
	global_store_dwordx2 v[12:13], v[24:25], off
	s_waitcnt lgkmcnt(0)
	v_mul_f32_e32 v5, v148, v2
	v_mul_f32_e32 v24, v148, v1
	s_mul_i32 s0, s8, 0x3b1
	v_mul_f64 v[8:9], v[8:9], s[2:3]
	v_mul_f64 v[18:19], v[22:23], s[2:3]
	v_fmac_f32_e32 v5, v147, v1
	v_fma_f32 v22, v147, v2, -v24
	v_mul_f32_e32 v24, v158, v11
	s_lshl_b64 s[4:5], s[0:1], 3
	v_mul_f64 v[16:17], v[20:21], s[2:3]
	v_add_co_u32 v1, s0, v12, s4
	v_add_co_ci_u32_e64 v2, s0, s5, v13, s0
	v_cvt_f64_f32_e32 v[12:13], v5
	v_fmac_f32_e32 v24, v157, v10
	v_mul_f64 v[20:21], v[26:27], s[2:3]
	v_mul_f32_e32 v25, v158, v10
	v_cvt_f64_f32_e32 v[22:23], v22
	global_store_dwordx2 v[1:2], v[14:15], off
	v_cvt_f64_f32_e32 v[14:15], v24
	s_mul_hi_u32 s1, s8, 0xfffffccd
	v_fma_f32 v5, v157, v11, -v25
	s_mul_i32 s0, s9, 0xfffffccd
	s_sub_i32 s1, s1, s8
	v_cvt_f32_f64_e32 v26, v[8:9]
	s_add_i32 s1, s1, s0
	v_cvt_f64_f32_e32 v[24:25], v5
	v_add_nc_u32_e32 v5, 0x2800, v179
	s_mul_i32 s0, s8, 0xfffffccd
	v_mul_f32_e32 v30, v152, v3
	v_cvt_f32_f64_e32 v27, v[16:17]
	v_cvt_f32_f64_e32 v16, v[18:19]
	ds_read2_b64 v[8:11], v5 offset0:43 offset1:169
	s_lshl_b64 s[6:7], s[0:1], 3
	v_mul_f32_e32 v5, v152, v4
	v_mul_f64 v[12:13], v[12:13], s[2:3]
	v_add_co_u32 v18, s0, v1, s6
	v_cvt_f32_f64_e32 v17, v[20:21]
	v_mul_f64 v[20:21], v[22:23], s[2:3]
	v_add_co_ci_u32_e64 v19, s0, s7, v2, s0
	v_mul_f64 v[14:15], v[14:15], s[2:3]
	v_add_co_u32 v22, s0, v18, s4
	v_fmac_f32_e32 v5, v151, v3
	ds_read2_b64 v[0:3], v0 offset0:120 offset1:246
	v_add_co_ci_u32_e64 v23, s0, s5, v19, s0
	v_fma_f32 v4, v151, v4, -v30
	global_store_dwordx2 v[18:19], v[26:27], off
	global_store_dwordx2 v[22:23], v[16:17], off
	s_waitcnt lgkmcnt(1)
	v_mul_f32_e32 v31, v154, v9
	v_mul_f32_e32 v32, v154, v8
	v_cvt_f32_f64_e32 v18, v[12:13]
	v_add_nc_u32_e32 v12, 0x3000, v179
	v_cvt_f64_f32_e32 v[28:29], v5
	v_fmac_f32_e32 v31, v153, v8
	v_fma_f32 v30, v153, v9, -v32
	v_cvt_f64_f32_e32 v[4:5], v4
	v_cvt_f32_f64_e32 v19, v[20:21]
	v_add_co_u32 v20, s0, v22, s6
	v_cvt_f64_f32_e32 v[8:9], v31
	v_cvt_f64_f32_e32 v[16:17], v30
	v_cvt_f32_f64_e32 v22, v[14:15]
	ds_read2_b64 v[12:15], v12 offset0:39 offset1:165
	v_mul_f64 v[24:25], v[24:25], s[2:3]
	s_waitcnt lgkmcnt(1)
	v_mul_f32_e32 v30, v142, v1
	v_mul_f32_e32 v31, v142, v0
	;; [unrolled: 1-line block ×4, first 2 shown]
	v_add_co_ci_u32_e64 v21, s0, s7, v23, s0
	v_fmac_f32_e32 v30, v141, v0
	v_fmac_f32_e32 v32, v138, v2
	v_fma_f32 v33, v138, v3, -v33
	v_mul_f64 v[26:27], v[28:29], s[2:3]
	v_fma_f32 v28, v141, v1, -v31
	v_mul_f32_e32 v31, v137, v10
	v_mul_f64 v[0:1], v[4:5], s[2:3]
	v_cvt_f64_f32_e32 v[28:29], v28
	v_mul_f64 v[4:5], v[8:9], s[2:3]
	v_mul_f64 v[8:9], v[16:17], s[2:3]
	v_cvt_f64_f32_e32 v[16:17], v30
	v_mul_f32_e32 v30, v137, v11
	s_waitcnt lgkmcnt(0)
	v_mul_f32_e32 v34, v135, v13
	v_cvt_f32_f64_e32 v23, v[24:25]
	v_mul_f32_e32 v38, v146, v15
	v_mul_f32_e32 v39, v146, v14
	v_fmac_f32_e32 v30, v136, v10
	v_fma_f32 v10, v136, v11, -v31
	v_fmac_f32_e32 v34, v134, v12
	v_mul_f32_e32 v12, v135, v12
	v_fmac_f32_e32 v38, v145, v14
	v_cvt_f64_f32_e32 v[2:3], v30
	v_cvt_f64_f32_e32 v[10:11], v10
	v_fma_f32 v39, v145, v15, -v39
	v_fma_f32 v12, v134, v13, -v12
	v_cvt_f64_f32_e32 v[30:31], v32
	v_cvt_f64_f32_e32 v[32:33], v33
	;; [unrolled: 1-line block ×8, first 2 shown]
	v_add_co_u32 v24, s0, v20, s4
	v_add_co_ci_u32_e64 v25, s0, s5, v21, s0
	global_store_dwordx2 v[20:21], v[18:19], off
	global_store_dwordx2 v[24:25], v[22:23], off
	v_cvt_f32_f64_e32 v19, v[0:1]
	v_mul_f64 v[0:1], v[16:17], s[2:3]
	v_mul_f64 v[16:17], v[28:29], s[2:3]
	;; [unrolled: 1-line block ×4, first 2 shown]
	v_add_co_u32 v20, s0, v24, s6
	v_cvt_f32_f64_e32 v4, v[4:5]
	v_cvt_f32_f64_e32 v5, v[8:9]
	v_mul_f64 v[8:9], v[30:31], s[2:3]
	v_mul_f64 v[22:23], v[32:33], s[2:3]
	;; [unrolled: 1-line block ×4, first 2 shown]
	v_add_co_ci_u32_e64 v21, s0, s7, v25, s0
	v_mul_f64 v[24:25], v[34:35], s[2:3]
	v_mul_f64 v[12:13], v[12:13], s[2:3]
	v_cvt_f32_f64_e32 v18, v[26:27]
	v_mul_f64 v[26:27], v[36:37], s[2:3]
	v_mul_f64 v[28:29], v[38:39], s[2:3]
	v_add_co_u32 v30, s0, v20, s4
	v_add_co_ci_u32_e64 v31, s0, s5, v21, s0
	v_cvt_f32_f64_e32 v0, v[0:1]
	v_cvt_f32_f64_e32 v1, v[16:17]
	v_add_co_u32 v16, s0, v30, s6
	v_add_co_ci_u32_e64 v17, s0, s7, v31, s0
	v_cvt_f32_f64_e32 v2, v[2:3]
	v_cvt_f32_f64_e32 v3, v[10:11]
	;; [unrolled: 4-line block ×3, first 2 shown]
	v_cvt_f32_f64_e32 v23, v[6:7]
	v_cvt_f32_f64_e32 v7, v[14:15]
	v_add_co_u32 v14, s0, v10, s6
	v_cvt_f32_f64_e32 v22, v[24:25]
	v_add_co_ci_u32_e64 v15, s0, s7, v11, s0
	v_cvt_f32_f64_e32 v6, v[12:13]
	v_cvt_f32_f64_e32 v12, v[26:27]
	v_cvt_f32_f64_e32 v13, v[28:29]
	global_store_dwordx2 v[20:21], v[18:19], off
	v_add_co_u32 v18, s0, v14, s4
	v_add_co_ci_u32_e64 v19, s0, s5, v15, s0
	global_store_dwordx2 v[30:31], v[4:5], off
	v_add_co_u32 v4, s0, v18, s6
	v_add_co_ci_u32_e64 v5, s0, s7, v19, s0
	;; [unrolled: 3-line block ×3, first 2 shown]
	global_store_dwordx2 v[10:11], v[2:3], off
	global_store_dwordx2 v[14:15], v[8:9], off
	;; [unrolled: 1-line block ×5, first 2 shown]
	s_and_b32 exec_lo, exec_lo, vcc_lo
	s_cbranch_execz .LBB0_23
; %bb.22:
	global_load_dwordx2 v[2:3], v[132:133], off offset:912
	ds_read_b64 v[4:5], v179 offset:7056
	ds_read_b64 v[6:7], v179 offset:14616
	v_add_co_u32 v0, vcc_lo, v0, s6
	v_add_co_ci_u32_e32 v1, vcc_lo, s7, v1, vcc_lo
	s_waitcnt vmcnt(0) lgkmcnt(1)
	v_mul_f32_e32 v8, v5, v3
	v_mul_f32_e32 v3, v4, v3
	v_fmac_f32_e32 v8, v4, v2
	v_fma_f32 v4, v2, v5, -v3
	v_cvt_f64_f32_e32 v[2:3], v8
	v_cvt_f64_f32_e32 v[4:5], v4
	v_mul_f64 v[2:3], v[2:3], s[2:3]
	v_mul_f64 v[4:5], v[4:5], s[2:3]
	v_cvt_f32_f64_e32 v2, v[2:3]
	v_cvt_f32_f64_e32 v3, v[4:5]
	global_store_dwordx2 v[0:1], v[2:3], off
	global_load_dwordx2 v[2:3], v[163:164], off offset:280
	v_add_co_u32 v0, vcc_lo, v0, s4
	v_add_co_ci_u32_e32 v1, vcc_lo, s5, v1, vcc_lo
	s_waitcnt vmcnt(0) lgkmcnt(0)
	v_mul_f32_e32 v4, v7, v3
	v_mul_f32_e32 v3, v6, v3
	v_fmac_f32_e32 v4, v6, v2
	v_fma_f32 v5, v2, v7, -v3
	v_cvt_f64_f32_e32 v[2:3], v4
	v_cvt_f64_f32_e32 v[4:5], v5
	v_mul_f64 v[2:3], v[2:3], s[2:3]
	v_mul_f64 v[4:5], v[4:5], s[2:3]
	v_cvt_f32_f64_e32 v2, v[2:3]
	v_cvt_f32_f64_e32 v3, v[4:5]
	global_store_dwordx2 v[0:1], v[2:3], off
.LBB0_23:
	s_endpgm
	.section	.rodata,"a",@progbits
	.p2align	6, 0x0
	.amdhsa_kernel bluestein_single_fwd_len1890_dim1_sp_op_CI_CI
		.amdhsa_group_segment_fixed_size 15120
		.amdhsa_private_segment_fixed_size 0
		.amdhsa_kernarg_size 104
		.amdhsa_user_sgpr_count 6
		.amdhsa_user_sgpr_private_segment_buffer 1
		.amdhsa_user_sgpr_dispatch_ptr 0
		.amdhsa_user_sgpr_queue_ptr 0
		.amdhsa_user_sgpr_kernarg_segment_ptr 1
		.amdhsa_user_sgpr_dispatch_id 0
		.amdhsa_user_sgpr_flat_scratch_init 0
		.amdhsa_user_sgpr_private_segment_size 0
		.amdhsa_wavefront_size32 1
		.amdhsa_uses_dynamic_stack 0
		.amdhsa_system_sgpr_private_segment_wavefront_offset 0
		.amdhsa_system_sgpr_workgroup_id_x 1
		.amdhsa_system_sgpr_workgroup_id_y 0
		.amdhsa_system_sgpr_workgroup_id_z 0
		.amdhsa_system_sgpr_workgroup_info 0
		.amdhsa_system_vgpr_workitem_id 0
		.amdhsa_next_free_vgpr 224
		.amdhsa_next_free_sgpr 16
		.amdhsa_reserve_vcc 1
		.amdhsa_reserve_flat_scratch 0
		.amdhsa_float_round_mode_32 0
		.amdhsa_float_round_mode_16_64 0
		.amdhsa_float_denorm_mode_32 3
		.amdhsa_float_denorm_mode_16_64 3
		.amdhsa_dx10_clamp 1
		.amdhsa_ieee_mode 1
		.amdhsa_fp16_overflow 0
		.amdhsa_workgroup_processor_mode 1
		.amdhsa_memory_ordered 1
		.amdhsa_forward_progress 0
		.amdhsa_shared_vgpr_count 0
		.amdhsa_exception_fp_ieee_invalid_op 0
		.amdhsa_exception_fp_denorm_src 0
		.amdhsa_exception_fp_ieee_div_zero 0
		.amdhsa_exception_fp_ieee_overflow 0
		.amdhsa_exception_fp_ieee_underflow 0
		.amdhsa_exception_fp_ieee_inexact 0
		.amdhsa_exception_int_div_zero 0
	.end_amdhsa_kernel
	.text
.Lfunc_end0:
	.size	bluestein_single_fwd_len1890_dim1_sp_op_CI_CI, .Lfunc_end0-bluestein_single_fwd_len1890_dim1_sp_op_CI_CI
                                        ; -- End function
	.section	.AMDGPU.csdata,"",@progbits
; Kernel info:
; codeLenInByte = 18272
; NumSgprs: 18
; NumVgprs: 224
; ScratchSize: 0
; MemoryBound: 0
; FloatMode: 240
; IeeeMode: 1
; LDSByteSize: 15120 bytes/workgroup (compile time only)
; SGPRBlocks: 2
; VGPRBlocks: 27
; NumSGPRsForWavesPerEU: 18
; NumVGPRsForWavesPerEU: 224
; Occupancy: 4
; WaveLimiterHint : 1
; COMPUTE_PGM_RSRC2:SCRATCH_EN: 0
; COMPUTE_PGM_RSRC2:USER_SGPR: 6
; COMPUTE_PGM_RSRC2:TRAP_HANDLER: 0
; COMPUTE_PGM_RSRC2:TGID_X_EN: 1
; COMPUTE_PGM_RSRC2:TGID_Y_EN: 0
; COMPUTE_PGM_RSRC2:TGID_Z_EN: 0
; COMPUTE_PGM_RSRC2:TIDIG_COMP_CNT: 0
	.text
	.p2alignl 6, 3214868480
	.fill 48, 4, 3214868480
	.type	__hip_cuid_206b8323111c1ae5,@object ; @__hip_cuid_206b8323111c1ae5
	.section	.bss,"aw",@nobits
	.globl	__hip_cuid_206b8323111c1ae5
__hip_cuid_206b8323111c1ae5:
	.byte	0                               ; 0x0
	.size	__hip_cuid_206b8323111c1ae5, 1

	.ident	"AMD clang version 19.0.0git (https://github.com/RadeonOpenCompute/llvm-project roc-6.4.0 25133 c7fe45cf4b819c5991fe208aaa96edf142730f1d)"
	.section	".note.GNU-stack","",@progbits
	.addrsig
	.addrsig_sym __hip_cuid_206b8323111c1ae5
	.amdgpu_metadata
---
amdhsa.kernels:
  - .args:
      - .actual_access:  read_only
        .address_space:  global
        .offset:         0
        .size:           8
        .value_kind:     global_buffer
      - .actual_access:  read_only
        .address_space:  global
        .offset:         8
        .size:           8
        .value_kind:     global_buffer
      - .actual_access:  read_only
        .address_space:  global
        .offset:         16
        .size:           8
        .value_kind:     global_buffer
      - .actual_access:  read_only
        .address_space:  global
        .offset:         24
        .size:           8
        .value_kind:     global_buffer
      - .actual_access:  read_only
        .address_space:  global
        .offset:         32
        .size:           8
        .value_kind:     global_buffer
      - .offset:         40
        .size:           8
        .value_kind:     by_value
      - .address_space:  global
        .offset:         48
        .size:           8
        .value_kind:     global_buffer
      - .address_space:  global
        .offset:         56
        .size:           8
        .value_kind:     global_buffer
      - .address_space:  global
        .offset:         64
        .size:           8
        .value_kind:     global_buffer
      - .address_space:  global
        .offset:         72
        .size:           8
        .value_kind:     global_buffer
      - .offset:         80
        .size:           4
        .value_kind:     by_value
      - .address_space:  global
        .offset:         88
        .size:           8
        .value_kind:     global_buffer
      - .address_space:  global
        .offset:         96
        .size:           8
        .value_kind:     global_buffer
    .group_segment_fixed_size: 15120
    .kernarg_segment_align: 8
    .kernarg_segment_size: 104
    .language:       OpenCL C
    .language_version:
      - 2
      - 0
    .max_flat_workgroup_size: 126
    .name:           bluestein_single_fwd_len1890_dim1_sp_op_CI_CI
    .private_segment_fixed_size: 0
    .sgpr_count:     18
    .sgpr_spill_count: 0
    .symbol:         bluestein_single_fwd_len1890_dim1_sp_op_CI_CI.kd
    .uniform_work_group_size: 1
    .uses_dynamic_stack: false
    .vgpr_count:     224
    .vgpr_spill_count: 0
    .wavefront_size: 32
    .workgroup_processor_mode: 1
amdhsa.target:   amdgcn-amd-amdhsa--gfx1030
amdhsa.version:
  - 1
  - 2
...

	.end_amdgpu_metadata
